;; amdgpu-corpus repo=ROCm/rocFFT kind=compiled arch=gfx1201 opt=O3
	.text
	.amdgcn_target "amdgcn-amd-amdhsa--gfx1201"
	.amdhsa_code_object_version 6
	.protected	bluestein_single_fwd_len832_dim1_dp_op_CI_CI ; -- Begin function bluestein_single_fwd_len832_dim1_dp_op_CI_CI
	.globl	bluestein_single_fwd_len832_dim1_dp_op_CI_CI
	.p2align	8
	.type	bluestein_single_fwd_len832_dim1_dp_op_CI_CI,@function
bluestein_single_fwd_len832_dim1_dp_op_CI_CI: ; @bluestein_single_fwd_len832_dim1_dp_op_CI_CI
; %bb.0:
	s_load_b128 s[8:11], s[0:1], 0x28
	v_mul_u32_u24_e32 v1, 0x277, v0
	s_mov_b32 s2, exec_lo
	v_mov_b32_e32 v246, 0
	s_delay_alu instid0(VALU_DEP_2) | instskip(NEXT) | instid1(VALU_DEP_1)
	v_lshrrev_b32_e32 v1, 16, v1
	v_add_nc_u32_e32 v245, ttmp9, v1
	s_wait_kmcnt 0x0
	s_delay_alu instid0(VALU_DEP_1)
	v_cmpx_gt_u64_e64 s[8:9], v[245:246]
	s_cbranch_execz .LBB0_15
; %bb.1:
	v_mul_lo_u16 v1, 0x68, v1
	s_clause 0x1
	s_load_b64 s[12:13], s[0:1], 0x0
	s_load_b64 s[8:9], s[0:1], 0x38
	s_delay_alu instid0(VALU_DEP_1) | instskip(NEXT) | instid1(VALU_DEP_1)
	v_sub_nc_u16 v0, v0, v1
	v_and_b32_e32 v241, 0xffff, v0
	v_cmp_gt_u16_e32 vcc_lo, 64, v0
	s_delay_alu instid0(VALU_DEP_2)
	v_lshlrev_b32_e32 v254, 4, v241
	v_or_b32_e32 v244, 64, v241
	v_or_b32_e32 v136, 0x80, v241
	;; [unrolled: 1-line block ×11, first 2 shown]
	s_and_saveexec_b32 s3, vcc_lo
	s_cbranch_execz .LBB0_3
; %bb.2:
	s_load_b64 s[4:5], s[0:1], 0x18
	s_wait_kmcnt 0x0
	s_load_b128 s[4:7], s[4:5], 0x0
	s_clause 0x1
	global_load_b128 v[0:3], v254, s[12:13]
	global_load_b128 v[4:7], v254, s[12:13] offset:1024
	s_wait_kmcnt 0x0
	v_mad_co_u64_u32 v[8:9], null, s6, v245, 0
	v_mad_co_u64_u32 v[10:11], null, s4, v241, 0
	;; [unrolled: 1-line block ×5, first 2 shown]
	s_delay_alu instid0(VALU_DEP_4)
	v_mad_co_u64_u32 v[22:23], null, s7, v245, v[9:10]
	v_mad_co_u64_u32 v[18:19], null, s4, v247, 0
	v_mad_co_u64_u32 v[20:21], null, s4, v248, 0
	v_mad_co_u64_u32 v[23:24], null, s5, v241, v[11:12]
	v_mad_co_u64_u32 v[40:41], null, s4, v249, 0
	v_mad_co_u64_u32 v[24:25], null, s5, v244, v[13:14]
	v_mad_co_u64_u32 v[72:73], null, s4, v255, 0
	v_mov_b32_e32 v9, v22
	v_mad_co_u64_u32 v[25:26], null, s5, v136, v[15:16]
	v_mad_co_u64_u32 v[26:27], null, s5, v246, v[17:18]
	;; [unrolled: 1-line block ×6, first 2 shown]
	v_mov_b32_e32 v11, v23
	v_lshlrev_b64_e32 v[8:9], 4, v[8:9]
	v_mov_b32_e32 v29, v41
	v_dual_mov_b32 v13, v24 :: v_dual_mov_b32 v52, v65
	s_delay_alu instid0(VALU_DEP_4)
	v_lshlrev_b64_e32 v[10:11], 4, v[10:11]
	v_mov_b32_e32 v15, v25
	v_add_co_u32 v90, s2, s10, v8
	v_mov_b32_e32 v21, v28
	v_mad_co_u64_u32 v[28:29], null, s5, v249, v[29:30]
	v_lshlrev_b64_e32 v[12:13], 4, v[12:13]
	v_add_co_ci_u32_e64 v91, s2, s11, v9, s2
	v_mov_b32_e32 v29, v49
	v_mov_b32_e32 v17, v26
	v_lshlrev_b64_e32 v[14:15], 4, v[14:15]
	v_add_co_u32 v8, s2, v90, v10
	v_mov_b32_e32 v19, v27
	s_wait_alu 0xf1ff
	v_add_co_ci_u32_e64 v9, s2, v91, v11, s2
	v_mad_co_u64_u32 v[42:43], null, s5, v250, v[29:30]
	v_lshlrev_b64_e32 v[16:17], 4, v[16:17]
	v_add_co_u32 v12, s2, v90, v12
	s_wait_alu 0xf1ff
	v_add_co_ci_u32_e64 v13, s2, v91, v13, s2
	v_lshlrev_b64_e32 v[24:25], 4, v[18:19]
	v_add_co_u32 v18, s2, v90, v14
	v_mov_b32_e32 v41, v28
	s_wait_alu 0xf1ff
	v_add_co_ci_u32_e64 v19, s2, v91, v15, s2
	v_add_co_u32 v22, s2, v90, v16
	v_lshlrev_b64_e32 v[26:27], 4, v[20:21]
	v_mov_b32_e32 v49, v42
	s_wait_alu 0xf1ff
	v_add_co_ci_u32_e64 v23, s2, v91, v17, s2
	v_add_co_u32 v32, s2, v90, v24
	v_lshlrev_b64_e32 v[50:51], 4, v[40:41]
	s_wait_alu 0xf1ff
	v_add_co_ci_u32_e64 v33, s2, v91, v25, s2
	v_add_co_u32 v36, s2, v90, v26
	v_lshlrev_b64_e32 v[48:49], 4, v[48:49]
	s_wait_alu 0xf1ff
	v_add_co_ci_u32_e64 v37, s2, v91, v27, s2
	v_add_co_u32 v50, s2, v90, v50
	v_mad_co_u64_u32 v[66:67], null, s4, v252, 0
	s_wait_alu 0xf1ff
	v_add_co_ci_u32_e64 v51, s2, v91, v51, s2
	v_add_co_u32 v53, s2, v90, v48
	v_mad_co_u64_u32 v[68:69], null, s4, v253, 0
	s_wait_alu 0xf1ff
	v_add_co_ci_u32_e64 v54, s2, v91, v49, s2
	s_delay_alu instid0(VALU_DEP_3)
	v_mad_co_u64_u32 v[56:57], null, s5, v251, v[52:53]
	v_mov_b32_e32 v57, v67
	s_clause 0x3
	global_load_b128 v[8:11], v[8:9], off
	global_load_b128 v[12:15], v[12:13], off
	global_load_b128 v[16:19], v[18:19], off
	global_load_b128 v[20:23], v[22:23], off
	s_clause 0x1
	global_load_b128 v[24:27], v254, s[12:13] offset:2048
	global_load_b128 v[28:31], v254, s[12:13] offset:3072
	s_clause 0x1
	global_load_b128 v[32:35], v[32:33], off
	global_load_b128 v[36:39], v[36:37], off
	s_clause 0x1
	global_load_b128 v[40:43], v254, s[12:13] offset:4096
	global_load_b128 v[44:47], v254, s[12:13] offset:5120
	s_clause 0x1
	global_load_b128 v[48:51], v[50:51], off
	global_load_b128 v[52:55], v[53:54], off
	v_mad_co_u64_u32 v[70:71], null, s5, v252, v[57:58]
	v_or_b32_e32 v71, 0x300, v241
	v_mov_b32_e32 v65, v56
	s_clause 0x1
	global_load_b128 v[56:59], v254, s[12:13] offset:6144
	global_load_b128 v[60:63], v254, s[12:13] offset:7168
	v_mad_co_u64_u32 v[84:85], null, s4, v71, 0
	v_mov_b32_e32 v67, v70
	v_mad_co_u64_u32 v[69:70], null, s5, v253, v[69:70]
	v_mov_b32_e32 v70, v73
	v_lshlrev_b64_e32 v[64:65], 4, v[64:65]
	s_delay_alu instid0(VALU_DEP_4) | instskip(NEXT) | instid1(VALU_DEP_3)
	v_lshlrev_b64_e32 v[66:67], 4, v[66:67]
	v_mad_co_u64_u32 v[73:74], null, s5, v255, v[70:71]
	v_mov_b32_e32 v70, v85
	s_delay_alu instid0(VALU_DEP_4)
	v_add_co_u32 v64, s2, v90, v64
	v_lshlrev_b64_e32 v[76:77], 4, v[68:69]
	s_wait_alu 0xf1ff
	v_add_co_ci_u32_e64 v65, s2, v91, v65, s2
	v_mad_co_u64_u32 v[78:79], null, s5, v71, v[70:71]
	v_add_co_u32 v74, s2, v90, v66
	v_lshlrev_b64_e32 v[88:89], 4, v[72:73]
	s_wait_alu 0xf1ff
	v_add_co_ci_u32_e64 v75, s2, v91, v67, s2
	v_add_co_u32 v86, s2, v90, v76
	v_mov_b32_e32 v85, v78
	s_wait_alu 0xf1ff
	v_add_co_ci_u32_e64 v87, s2, v91, v77, s2
	v_add_co_u32 v88, s2, v90, v88
	s_delay_alu instid0(VALU_DEP_3)
	v_lshlrev_b64_e32 v[84:85], 4, v[84:85]
	s_wait_alu 0xf1ff
	v_add_co_ci_u32_e64 v89, s2, v91, v89, s2
	s_clause 0x1
	global_load_b128 v[64:67], v[64:65], off
	global_load_b128 v[68:71], v[74:75], off
	s_clause 0x2
	global_load_b128 v[72:75], v254, s[12:13] offset:8192
	global_load_b128 v[76:79], v254, s[12:13] offset:9216
	;; [unrolled: 1-line block ×3, first 2 shown]
	v_add_co_u32 v100, s2, v90, v84
	s_wait_alu 0xf1ff
	v_add_co_ci_u32_e64 v101, s2, v91, v85, s2
	s_clause 0x1
	global_load_b128 v[84:87], v[86:87], off
	global_load_b128 v[88:91], v[88:89], off
	s_clause 0x1
	global_load_b128 v[92:95], v254, s[12:13] offset:11264
	global_load_b128 v[96:99], v254, s[12:13] offset:12288
	global_load_b128 v[100:103], v[100:101], off
	s_wait_loadcnt 0x17
	v_mul_f64_e32 v[104:105], v[10:11], v[2:3]
	v_mul_f64_e32 v[2:3], v[8:9], v[2:3]
	s_wait_loadcnt 0x16
	v_mul_f64_e32 v[106:107], v[14:15], v[6:7]
	v_mul_f64_e32 v[108:109], v[12:13], v[6:7]
	;; [unrolled: 3-line block ×8, first 2 shown]
	v_fma_f64 v[6:7], v[8:9], v[0:1], v[104:105]
	v_fma_f64 v[8:9], v[10:11], v[0:1], -v[2:3]
	v_fma_f64 v[0:1], v[12:13], v[4:5], v[106:107]
	v_fma_f64 v[2:3], v[14:15], v[4:5], -v[108:109]
	;; [unrolled: 2-line block ×5, first 2 shown]
	s_wait_loadcnt 0x7
	v_mul_f64_e32 v[122:123], v[66:67], v[74:75]
	v_mul_f64_e32 v[74:75], v[64:65], v[74:75]
	s_wait_loadcnt 0x6
	v_mul_f64_e32 v[124:125], v[70:71], v[78:79]
	v_mul_f64_e32 v[78:79], v[68:69], v[78:79]
	;; [unrolled: 3-line block ×5, first 2 shown]
	v_fma_f64 v[22:23], v[36:37], v[44:45], v[116:117]
	v_fma_f64 v[24:25], v[38:39], v[44:45], -v[46:47]
	v_fma_f64 v[26:27], v[48:49], v[56:57], v[118:119]
	v_fma_f64 v[28:29], v[50:51], v[56:57], -v[58:59]
	v_fma_f64 v[30:31], v[52:53], v[60:61], v[120:121]
	v_fma_f64 v[32:33], v[54:55], v[60:61], -v[62:63]
	v_fma_f64 v[34:35], v[64:65], v[72:73], v[122:123]
	v_fma_f64 v[36:37], v[66:67], v[72:73], -v[74:75]
	v_fma_f64 v[38:39], v[68:69], v[76:77], v[124:125]
	v_fma_f64 v[40:41], v[70:71], v[76:77], -v[78:79]
	v_fma_f64 v[42:43], v[84:85], v[80:81], v[126:127]
	v_fma_f64 v[44:45], v[86:87], v[80:81], -v[82:83]
	v_fma_f64 v[46:47], v[88:89], v[92:93], v[128:129]
	v_fma_f64 v[48:49], v[90:91], v[92:93], -v[94:95]
	v_fma_f64 v[50:51], v[100:101], v[96:97], v[130:131]
	v_fma_f64 v[52:53], v[102:103], v[96:97], -v[98:99]
	ds_store_b128 v254, v[6:9]
	ds_store_b128 v254, v[0:3] offset:1024
	ds_store_b128 v254, v[10:13] offset:2048
	;; [unrolled: 1-line block ×12, first 2 shown]
.LBB0_3:
	s_or_b32 exec_lo, exec_lo, s3
	s_clause 0x1
	s_load_b64 s[4:5], s[0:1], 0x20
	s_load_b64 s[2:3], s[0:1], 0x8
	global_wb scope:SCOPE_SE
	s_wait_dscnt 0x0
	s_wait_kmcnt 0x0
	s_barrier_signal -1
	s_barrier_wait -1
	global_inv scope:SCOPE_SE
                                        ; implicit-def: $vgpr20_vgpr21
                                        ; implicit-def: $vgpr44_vgpr45
                                        ; implicit-def: $vgpr52_vgpr53
                                        ; implicit-def: $vgpr56_vgpr57
                                        ; implicit-def: $vgpr68_vgpr69
                                        ; implicit-def: $vgpr64_vgpr65
                                        ; implicit-def: $vgpr60_vgpr61
                                        ; implicit-def: $vgpr48_vgpr49
                                        ; implicit-def: $vgpr40_vgpr41
                                        ; implicit-def: $vgpr36_vgpr37
                                        ; implicit-def: $vgpr32_vgpr33
                                        ; implicit-def: $vgpr28_vgpr29
                                        ; implicit-def: $vgpr24_vgpr25
	s_and_saveexec_b32 s0, vcc_lo
	s_cbranch_execz .LBB0_5
; %bb.4:
	ds_load_b128 v[20:23], v254
	ds_load_b128 v[44:47], v254 offset:1024
	ds_load_b128 v[52:55], v254 offset:2048
	ds_load_b128 v[56:59], v254 offset:3072
	ds_load_b128 v[68:71], v254 offset:4096
	ds_load_b128 v[64:67], v254 offset:5120
	ds_load_b128 v[60:63], v254 offset:6144
	ds_load_b128 v[48:51], v254 offset:7168
	ds_load_b128 v[40:43], v254 offset:8192
	ds_load_b128 v[36:39], v254 offset:9216
	ds_load_b128 v[32:35], v254 offset:10240
	ds_load_b128 v[28:31], v254 offset:11264
	ds_load_b128 v[24:27], v254 offset:12288
.LBB0_5:
	s_wait_alu 0xfffe
	s_or_b32 exec_lo, exec_lo, s0
	s_wait_dscnt 0x0
	v_add_f64_e64 v[96:97], v[46:47], -v[26:27]
	s_mov_b32 s10, 0x4267c47c
	s_mov_b32 s11, 0xbfddbe06
	v_add_f64_e32 v[92:93], v[44:45], v[24:25]
	v_add_f64_e64 v[114:115], v[54:55], -v[30:31]
	s_mov_b32 s0, 0xe00740e9
	s_mov_b32 s14, 0x42a4c3d2
	;; [unrolled: 1-line block ×4, first 2 shown]
	v_add_f64_e32 v[72:73], v[52:53], v[28:29]
	v_add_f64_e64 v[130:131], v[44:45], -v[24:25]
	s_mov_b32 s6, 0x1ea71119
	s_mov_b32 s7, 0x3fe22d96
	v_add_f64_e32 v[124:125], v[46:47], v[26:27]
	v_add_f64_e64 v[120:121], v[52:53], -v[28:29]
	v_add_f64_e32 v[76:77], v[54:55], v[30:31]
	v_add_f64_e64 v[122:123], v[58:59], -v[34:35]
	s_mov_b32 s24, 0x66966769
	s_mov_b32 s25, 0xbfefc445
	v_add_f64_e32 v[80:81], v[56:57], v[32:33]
	v_add_f64_e64 v[128:129], v[56:57], -v[32:33]
	s_mov_b32 s16, 0xebaa3ed8
	s_mov_b32 s17, 0x3fbedb7d
	;; [unrolled: 4-line block ×5, first 2 shown]
	v_add_f64_e32 v[98:99], v[64:65], v[40:41]
	v_add_f64_e64 v[139:140], v[64:65], -v[40:41]
	s_mov_b32 s20, 0xd0032e0c
	s_wait_alu 0xfffe
	v_mul_f64_e32 v[94:95], s[10:11], v[96:97]
	s_mov_b32 s21, 0xbfe7f3cc
	v_add_f64_e32 v[110:111], v[66:67], v[42:43]
	v_add_f64_e64 v[145:146], v[62:63], -v[50:51]
	v_mul_f64_e32 v[74:75], s[14:15], v[114:115]
	s_mov_b32 s34, 0x4bc48dbf
	s_mov_b32 s35, 0xbfcea1e5
	v_add_f64_e32 v[106:107], v[60:61], v[48:49]
	v_add_f64_e64 v[153:154], v[60:61], -v[48:49]
	s_mov_b32 s22, 0x93053d00
	v_mul_f64_e32 v[126:127], s[10:11], v[130:131]
	s_mov_b32 s23, 0xbfef11f4
	v_add_f64_e32 v[116:117], v[62:63], v[50:51]
	v_mul_f64_e32 v[225:226], s[14:15], v[96:97]
	v_mul_f64_e32 v[78:79], s[14:15], v[120:121]
	;; [unrolled: 1-line block ×9, first 2 shown]
	s_mov_b32 s39, 0x3fe5384d
	s_mov_b32 s38, s28
	v_mul_f64_e32 v[90:91], s[26:27], v[132:133]
	v_mul_f64_e32 v[149:150], s[38:39], v[132:133]
	s_mov_b32 s31, 0x3fefc445
	s_mov_b32 s30, s24
	v_mul_f64_e32 v[104:105], s[26:27], v[134:135]
	v_mul_f64_e32 v[157:158], s[38:39], v[134:135]
	;; [unrolled: 4-line block ×3, first 2 shown]
	v_mul_f64_e32 v[229:230], s[24:25], v[96:97]
	v_mul_f64_e32 v[161:162], s[34:35], v[114:115]
	;; [unrolled: 1-line block ×4, first 2 shown]
	v_fma_f64 v[0:1], v[92:93], s[0:1], v[94:95]
	v_mul_f64_e32 v[231:232], s[24:25], v[130:131]
	v_mul_f64_e32 v[171:172], s[34:35], v[120:121]
	;; [unrolled: 1-line block ×3, first 2 shown]
	v_fma_f64 v[2:3], v[72:73], s[6:7], v[74:75]
	v_mul_f64_e32 v[159:160], s[36:37], v[145:146]
	s_mov_b32 s41, 0x3fedeba7
	s_mov_b32 s40, s26
	v_mul_f64_e32 v[118:119], s[34:35], v[153:154]
	v_mul_f64_e32 v[165:166], s[36:37], v[153:154]
	;; [unrolled: 1-line block ×6, first 2 shown]
	v_fma_f64 v[4:5], v[76:77], s[6:7], -v[78:79]
	v_fma_f64 v[6:7], v[72:73], s[18:19], v[141:142]
	v_mul_f64_e32 v[177:178], s[14:15], v[137:138]
	v_mul_f64_e32 v[189:190], s[14:15], v[139:140]
	v_fma_f64 v[8:9], v[76:77], s[18:19], -v[147:148]
	v_mul_f64_e32 v[169:170], s[28:29], v[145:146]
	v_mul_f64_e32 v[185:186], s[28:29], v[153:154]
	;; [unrolled: 1-line block ×10, first 2 shown]
	s_mov_b32 s45, 0x3fcea1e5
	s_mov_b32 s44, s34
	;; [unrolled: 1-line block ×3, first 2 shown]
	v_mul_f64_e32 v[193:194], s[44:45], v[137:138]
	v_mul_f64_e32 v[203:204], s[44:45], v[139:140]
	s_mov_b32 s42, s14
	v_fma_f64 v[10:11], v[72:73], s[22:23], v[161:162]
	v_mul_f64_e32 v[197:198], s[42:43], v[145:146]
	v_mul_f64_e32 v[209:210], s[42:43], v[153:154]
	v_add_f64_e32 v[0:1], v[20:21], v[0:1]
	v_mul_f64_e32 v[237:238], s[28:29], v[96:97]
	v_fma_f64 v[12:13], v[76:77], s[22:23], -v[171:172]
	v_mul_f64_e32 v[199:200], s[30:31], v[114:115]
	v_mul_f64_e32 v[239:240], s[28:29], v[130:131]
	;; [unrolled: 1-line block ×8, first 2 shown]
	global_wb scope:SCOPE_SE
	s_barrier_signal -1
	s_barrier_wait -1
	global_inv scope:SCOPE_SE
	v_fma_f64 v[14:15], v[72:73], s[20:21], v[173:174]
	v_fma_f64 v[16:17], v[76:77], s[20:21], -v[191:192]
	v_add_f64_e32 v[0:1], v[2:3], v[0:1]
	v_fma_f64 v[2:3], v[124:125], s[0:1], -v[126:127]
	v_fma_f64 v[18:19], v[72:73], s[16:17], v[199:200]
	v_fma_f64 v[205:206], v[76:77], s[16:17], -v[215:216]
	s_delay_alu instid0(VALU_DEP_3) | instskip(NEXT) | instid1(VALU_DEP_1)
	v_add_f64_e32 v[2:3], v[22:23], v[2:3]
	v_add_f64_e32 v[2:3], v[4:5], v[2:3]
	v_fma_f64 v[4:5], v[80:81], s[16:17], v[82:83]
	s_delay_alu instid0(VALU_DEP_1) | instskip(SKIP_1) | instid1(VALU_DEP_1)
	v_add_f64_e32 v[0:1], v[4:5], v[0:1]
	v_fma_f64 v[4:5], v[84:85], s[16:17], -v[86:87]
	v_add_f64_e32 v[2:3], v[4:5], v[2:3]
	v_fma_f64 v[4:5], v[88:89], s[18:19], v[90:91]
	s_delay_alu instid0(VALU_DEP_1) | instskip(SKIP_1) | instid1(VALU_DEP_1)
	v_add_f64_e32 v[0:1], v[4:5], v[0:1]
	v_fma_f64 v[4:5], v[102:103], s[18:19], -v[104:105]
	v_add_f64_e32 v[2:3], v[4:5], v[2:3]
	v_fma_f64 v[4:5], v[98:99], s[20:21], v[100:101]
	s_delay_alu instid0(VALU_DEP_1) | instskip(SKIP_1) | instid1(VALU_DEP_1)
	v_add_f64_e32 v[0:1], v[4:5], v[0:1]
	v_fma_f64 v[4:5], v[110:111], s[20:21], -v[112:113]
	v_add_f64_e32 v[2:3], v[4:5], v[2:3]
	v_fma_f64 v[4:5], v[106:107], s[22:23], v[108:109]
	s_delay_alu instid0(VALU_DEP_1) | instskip(SKIP_1) | instid1(VALU_DEP_1)
	v_add_f64_e32 v[0:1], v[4:5], v[0:1]
	v_fma_f64 v[4:5], v[116:117], s[22:23], -v[118:119]
	v_add_f64_e32 v[2:3], v[4:5], v[2:3]
	v_fma_f64 v[4:5], v[92:93], s[6:7], v[225:226]
	s_delay_alu instid0(VALU_DEP_1) | instskip(NEXT) | instid1(VALU_DEP_1)
	v_add_f64_e32 v[4:5], v[20:21], v[4:5]
	v_add_f64_e32 v[4:5], v[6:7], v[4:5]
	v_fma_f64 v[6:7], v[124:125], s[6:7], -v[227:228]
	s_delay_alu instid0(VALU_DEP_1) | instskip(NEXT) | instid1(VALU_DEP_1)
	v_add_f64_e32 v[6:7], v[22:23], v[6:7]
	v_add_f64_e32 v[6:7], v[8:9], v[6:7]
	v_fma_f64 v[8:9], v[80:81], s[22:23], v[143:144]
	s_delay_alu instid0(VALU_DEP_1) | instskip(SKIP_1) | instid1(VALU_DEP_1)
	v_add_f64_e32 v[4:5], v[8:9], v[4:5]
	v_fma_f64 v[8:9], v[84:85], s[22:23], -v[151:152]
	v_add_f64_e32 v[6:7], v[8:9], v[6:7]
	v_fma_f64 v[8:9], v[88:89], s[20:21], v[149:150]
	s_delay_alu instid0(VALU_DEP_1) | instskip(SKIP_1) | instid1(VALU_DEP_1)
	v_add_f64_e32 v[4:5], v[8:9], v[4:5]
	v_fma_f64 v[8:9], v[102:103], s[20:21], -v[157:158]
	v_add_f64_e32 v[6:7], v[8:9], v[6:7]
	v_fma_f64 v[8:9], v[98:99], s[16:17], v[155:156]
	s_delay_alu instid0(VALU_DEP_1) | instskip(SKIP_1) | instid1(VALU_DEP_1)
	v_add_f64_e32 v[4:5], v[8:9], v[4:5]
	v_fma_f64 v[8:9], v[110:111], s[16:17], -v[163:164]
	v_add_f64_e32 v[6:7], v[8:9], v[6:7]
	v_fma_f64 v[8:9], v[106:107], s[0:1], v[159:160]
	s_delay_alu instid0(VALU_DEP_1) | instskip(SKIP_1) | instid1(VALU_DEP_1)
	v_add_f64_e32 v[4:5], v[8:9], v[4:5]
	v_fma_f64 v[8:9], v[116:117], s[0:1], -v[165:166]
	v_add_f64_e32 v[6:7], v[8:9], v[6:7]
	v_fma_f64 v[8:9], v[92:93], s[16:17], v[229:230]
	s_delay_alu instid0(VALU_DEP_1) | instskip(NEXT) | instid1(VALU_DEP_1)
	v_add_f64_e32 v[8:9], v[20:21], v[8:9]
	v_add_f64_e32 v[8:9], v[10:11], v[8:9]
	v_fma_f64 v[10:11], v[124:125], s[16:17], -v[231:232]
	s_delay_alu instid0(VALU_DEP_1) | instskip(NEXT) | instid1(VALU_DEP_1)
	;; [unrolled: 28-line block ×4, first 2 shown]
	v_add_f64_e32 v[18:19], v[22:23], v[18:19]
	v_add_f64_e32 v[18:19], v[205:206], v[18:19]
	v_mul_f64_e32 v[205:206], s[14:15], v[122:123]
	s_delay_alu instid0(VALU_DEP_1) | instskip(NEXT) | instid1(VALU_DEP_1)
	v_fma_f64 v[207:208], v[80:81], s[6:7], v[205:206]
	v_add_f64_e32 v[16:17], v[207:208], v[16:17]
	v_fma_f64 v[207:208], v[84:85], s[6:7], -v[217:218]
	s_delay_alu instid0(VALU_DEP_1) | instskip(SKIP_1) | instid1(VALU_DEP_1)
	v_add_f64_e32 v[18:19], v[207:208], v[18:19]
	v_fma_f64 v[207:208], v[88:89], s[22:23], v[211:212]
	v_add_f64_e32 v[16:17], v[207:208], v[16:17]
	v_fma_f64 v[207:208], v[102:103], s[22:23], -v[219:220]
	s_delay_alu instid0(VALU_DEP_1) | instskip(SKIP_1) | instid1(VALU_DEP_1)
	v_add_f64_e32 v[18:19], v[207:208], v[18:19]
	;; [unrolled: 5-line block ×3, first 2 shown]
	v_mul_f64_e32 v[207:208], s[26:27], v[145:146]
	v_fma_f64 v[221:222], v[106:107], s[18:19], v[207:208]
	s_delay_alu instid0(VALU_DEP_1) | instskip(SKIP_1) | instid1(VALU_DEP_1)
	v_add_f64_e32 v[16:17], v[221:222], v[16:17]
	v_mul_f64_e32 v[221:222], s[26:27], v[153:154]
	v_fma_f64 v[242:243], v[116:117], s[18:19], -v[221:222]
	s_delay_alu instid0(VALU_DEP_1)
	v_add_f64_e32 v[18:19], v[242:243], v[18:19]
	v_mul_lo_u16 v242, v241, 13
	s_and_saveexec_b32 s33, vcc_lo
	s_cbranch_execz .LBB0_7
; %bb.6:
	v_add_f64_e32 v[44:45], v[20:21], v[44:45]
	v_add_f64_e32 v[46:47], v[22:23], v[46:47]
	s_delay_alu instid0(VALU_DEP_2) | instskip(NEXT) | instid1(VALU_DEP_2)
	v_add_f64_e32 v[44:45], v[44:45], v[52:53]
	v_add_f64_e32 v[46:47], v[46:47], v[54:55]
	v_mul_f64_e32 v[54:55], s[0:1], v[92:93]
	s_delay_alu instid0(VALU_DEP_3) | instskip(NEXT) | instid1(VALU_DEP_3)
	v_add_f64_e32 v[44:45], v[44:45], v[56:57]
	v_add_f64_e32 v[46:47], v[46:47], v[58:59]
	s_delay_alu instid0(VALU_DEP_3) | instskip(NEXT) | instid1(VALU_DEP_3)
	v_add_f64_e64 v[54:55], v[54:55], -v[94:95]
	v_add_f64_e32 v[44:45], v[44:45], v[68:69]
	s_delay_alu instid0(VALU_DEP_3) | instskip(NEXT) | instid1(VALU_DEP_3)
	v_add_f64_e32 v[46:47], v[46:47], v[70:71]
	v_add_f64_e32 v[54:55], v[20:21], v[54:55]
	v_mul_f64_e32 v[70:71], s[30:31], v[145:146]
	s_delay_alu instid0(VALU_DEP_4) | instskip(NEXT) | instid1(VALU_DEP_4)
	v_add_f64_e32 v[44:45], v[44:45], v[64:65]
	v_add_f64_e32 v[46:47], v[46:47], v[66:67]
	s_delay_alu instid0(VALU_DEP_2) | instskip(NEXT) | instid1(VALU_DEP_2)
	v_add_f64_e32 v[44:45], v[44:45], v[60:61]
	v_add_f64_e32 v[46:47], v[46:47], v[62:63]
	s_delay_alu instid0(VALU_DEP_2) | instskip(NEXT) | instid1(VALU_DEP_2)
	v_add_f64_e32 v[44:45], v[44:45], v[48:49]
	v_add_f64_e32 v[46:47], v[46:47], v[50:51]
	v_mul_f64_e32 v[50:51], s[34:35], v[96:97]
	v_mul_f64_e32 v[48:49], s[0:1], v[124:125]
	s_delay_alu instid0(VALU_DEP_4) | instskip(NEXT) | instid1(VALU_DEP_4)
	v_add_f64_e32 v[40:41], v[44:45], v[40:41]
	v_add_f64_e32 v[42:43], v[46:47], v[42:43]
	v_mul_f64_e32 v[46:47], s[6:7], v[92:93]
	v_mul_f64_e32 v[44:45], s[6:7], v[124:125]
	v_fma_f64 v[52:53], v[92:93], s[22:23], v[50:51]
	v_fma_f64 v[50:51], v[92:93], s[22:23], -v[50:51]
	v_add_f64_e32 v[48:49], v[126:127], v[48:49]
	v_add_f64_e32 v[36:37], v[40:41], v[36:37]
	;; [unrolled: 1-line block ×3, first 2 shown]
	v_mul_f64_e32 v[40:41], s[16:17], v[124:125]
	v_mul_f64_e32 v[42:43], s[16:17], v[92:93]
	v_add_f64_e64 v[46:47], v[46:47], -v[225:226]
	v_add_f64_e32 v[44:45], v[227:228], v[44:45]
	v_add_f64_e32 v[52:53], v[20:21], v[52:53]
	;; [unrolled: 1-line block ×6, first 2 shown]
	v_mul_f64_e32 v[36:37], s[18:19], v[124:125]
	v_mul_f64_e32 v[38:39], s[18:19], v[92:93]
	v_add_f64_e32 v[40:41], v[231:232], v[40:41]
	v_add_f64_e64 v[42:43], v[42:43], -v[229:230]
	v_add_f64_e32 v[28:29], v[32:33], v[28:29]
	v_add_f64_e32 v[30:31], v[34:35], v[30:31]
	v_mul_f64_e32 v[34:35], s[20:21], v[92:93]
	v_add_f64_e32 v[36:37], v[235:236], v[36:37]
	v_mul_f64_e32 v[32:33], s[20:21], v[124:125]
	v_add_f64_e64 v[38:39], v[38:39], -v[233:234]
	v_mul_f64_e32 v[92:93], s[16:17], v[116:117]
	v_add_f64_e32 v[24:25], v[28:29], v[24:25]
	v_mul_f64_e32 v[28:29], s[22:23], v[124:125]
	v_add_f64_e32 v[26:27], v[30:31], v[26:27]
	v_add_f64_e64 v[34:35], v[34:35], -v[237:238]
	v_add_f64_e32 v[60:61], v[22:23], v[36:37]
	v_add_f64_e32 v[36:37], v[22:23], v[40:41]
	v_mul_f64_e32 v[40:41], s[0:1], v[76:77]
	v_add_f64_e32 v[32:33], v[239:240], v[32:33]
	v_add_f64_e32 v[62:63], v[20:21], v[38:39]
	;; [unrolled: 1-line block ×3, first 2 shown]
	v_mul_f64_e32 v[42:43], s[20:21], v[84:85]
	v_fma_f64 v[30:31], v[130:131], s[44:45], v[28:29]
	v_fma_f64 v[28:29], v[130:131], s[34:35], v[28:29]
	v_add_f64_e32 v[58:59], v[20:21], v[34:35]
	v_add_f64_e32 v[34:35], v[20:21], v[46:47]
	v_fma_f64 v[20:21], v[120:121], s[10:11], v[40:41]
	v_add_f64_e32 v[56:57], v[22:23], v[32:33]
	v_add_f64_e32 v[32:33], v[22:23], v[44:45]
	v_fma_f64 v[40:41], v[120:121], s[36:37], v[40:41]
	v_fma_f64 v[44:45], v[128:129], s[38:39], v[42:43]
	v_fma_f64 v[42:43], v[128:129], s[28:29], v[42:43]
	v_add_f64_e32 v[30:31], v[22:23], v[30:31]
	v_add_f64_e32 v[28:29], v[22:23], v[28:29]
	s_delay_alu instid0(VALU_DEP_2) | instskip(SKIP_1) | instid1(VALU_DEP_3)
	v_add_f64_e32 v[20:21], v[20:21], v[30:31]
	v_mul_f64_e32 v[30:31], s[36:37], v[114:115]
	v_add_f64_e32 v[28:29], v[40:41], v[28:29]
	s_delay_alu instid0(VALU_DEP_3) | instskip(NEXT) | instid1(VALU_DEP_3)
	v_add_f64_e32 v[20:21], v[44:45], v[20:21]
	v_fma_f64 v[22:23], v[72:73], s[0:1], v[30:31]
	v_mul_f64_e32 v[44:45], s[28:29], v[122:123]
	v_fma_f64 v[30:31], v[72:73], s[0:1], -v[30:31]
	v_add_f64_e32 v[28:29], v[42:43], v[28:29]
	v_fma_f64 v[42:43], v[106:107], s[16:17], -v[70:71]
	v_add_f64_e32 v[22:23], v[22:23], v[52:53]
	v_fma_f64 v[46:47], v[80:81], s[20:21], v[44:45]
	v_add_f64_e32 v[30:31], v[30:31], v[50:51]
	v_fma_f64 v[40:41], v[80:81], s[20:21], -v[44:45]
	v_mul_f64_e32 v[44:45], s[22:23], v[84:85]
	v_mul_f64_e32 v[50:51], s[20:21], v[102:103]
	v_add_f64_e32 v[22:23], v[46:47], v[22:23]
	v_mul_f64_e32 v[46:47], s[6:7], v[102:103]
	v_add_f64_e32 v[30:31], v[40:41], v[30:31]
	v_add_f64_e32 v[44:45], v[151:152], v[44:45]
	;; [unrolled: 1-line block ×3, first 2 shown]
	s_delay_alu instid0(VALU_DEP_4) | instskip(SKIP_1) | instid1(VALU_DEP_2)
	v_fma_f64 v[52:53], v[134:135], s[14:15], v[46:47]
	v_fma_f64 v[46:47], v[134:135], s[42:43], v[46:47]
	v_add_f64_e32 v[20:21], v[52:53], v[20:21]
	v_mul_f64_e32 v[52:53], s[42:43], v[132:133]
	s_delay_alu instid0(VALU_DEP_3) | instskip(SKIP_1) | instid1(VALU_DEP_3)
	v_add_f64_e32 v[28:29], v[46:47], v[28:29]
	v_mul_f64_e32 v[46:47], s[22:23], v[80:81]
	v_fma_f64 v[64:65], v[88:89], s[6:7], v[52:53]
	v_fma_f64 v[40:41], v[88:89], s[6:7], -v[52:53]
	s_delay_alu instid0(VALU_DEP_3) | instskip(SKIP_1) | instid1(VALU_DEP_4)
	v_add_f64_e64 v[46:47], v[46:47], -v[143:144]
	v_mul_f64_e32 v[52:53], s[20:21], v[88:89]
	v_add_f64_e32 v[22:23], v[64:65], v[22:23]
	v_mul_f64_e32 v[64:65], s[18:19], v[110:111]
	v_add_f64_e32 v[30:31], v[40:41], v[30:31]
	s_delay_alu instid0(VALU_DEP_4) | instskip(NEXT) | instid1(VALU_DEP_3)
	v_add_f64_e64 v[52:53], v[52:53], -v[149:150]
	v_fma_f64 v[66:67], v[139:140], s[40:41], v[64:65]
	v_fma_f64 v[64:65], v[139:140], s[26:27], v[64:65]
	s_delay_alu instid0(VALU_DEP_2) | instskip(SKIP_1) | instid1(VALU_DEP_3)
	v_add_f64_e32 v[20:21], v[66:67], v[20:21]
	v_mul_f64_e32 v[66:67], s[26:27], v[137:138]
	v_add_f64_e32 v[28:29], v[64:65], v[28:29]
	v_mul_f64_e32 v[64:65], s[16:17], v[110:111]
	s_delay_alu instid0(VALU_DEP_3) | instskip(SKIP_1) | instid1(VALU_DEP_3)
	v_fma_f64 v[68:69], v[98:99], s[18:19], v[66:67]
	v_fma_f64 v[40:41], v[98:99], s[18:19], -v[66:67]
	v_add_f64_e32 v[64:65], v[163:164], v[64:65]
	s_delay_alu instid0(VALU_DEP_3) | instskip(SKIP_1) | instid1(VALU_DEP_4)
	v_add_f64_e32 v[68:69], v[68:69], v[22:23]
	v_fma_f64 v[22:23], v[153:154], s[24:25], v[92:93]
	v_add_f64_e32 v[40:41], v[40:41], v[30:31]
	s_delay_alu instid0(VALU_DEP_2) | instskip(SKIP_1) | instid1(VALU_DEP_1)
	v_add_f64_e32 v[22:23], v[22:23], v[20:21]
	v_fma_f64 v[20:21], v[106:107], s[16:17], v[70:71]
	v_add_f64_e32 v[20:21], v[20:21], v[68:69]
	v_fma_f64 v[68:69], v[153:154], s[30:31], v[92:93]
	s_delay_alu instid0(VALU_DEP_1) | instskip(SKIP_3) | instid1(VALU_DEP_2)
	v_add_f64_e32 v[30:31], v[68:69], v[28:29]
	v_add_f64_e32 v[28:29], v[42:43], v[40:41]
	v_mul_f64_e32 v[40:41], s[18:19], v[76:77]
	v_mul_f64_e32 v[42:43], s[18:19], v[72:73]
	v_add_f64_e32 v[40:41], v[147:148], v[40:41]
	s_delay_alu instid0(VALU_DEP_2) | instskip(NEXT) | instid1(VALU_DEP_2)
	v_add_f64_e64 v[42:43], v[42:43], -v[141:142]
	v_add_f64_e32 v[32:33], v[40:41], v[32:33]
	s_delay_alu instid0(VALU_DEP_2) | instskip(SKIP_2) | instid1(VALU_DEP_4)
	v_add_f64_e32 v[34:35], v[42:43], v[34:35]
	v_mul_f64_e32 v[40:41], s[16:17], v[98:99]
	v_mul_f64_e32 v[42:43], s[0:1], v[116:117]
	v_add_f64_e32 v[32:33], v[44:45], v[32:33]
	s_delay_alu instid0(VALU_DEP_4) | instskip(NEXT) | instid1(VALU_DEP_4)
	v_add_f64_e32 v[34:35], v[46:47], v[34:35]
	v_add_f64_e64 v[40:41], v[40:41], -v[155:156]
	v_mul_f64_e32 v[44:45], s[0:1], v[106:107]
	v_add_f64_e32 v[42:43], v[165:166], v[42:43]
	v_mul_f64_e32 v[46:47], s[18:19], v[80:81]
	v_add_f64_e32 v[32:33], v[50:51], v[32:33]
	v_add_f64_e32 v[34:35], v[52:53], v[34:35]
	v_mul_f64_e32 v[50:51], s[0:1], v[102:103]
	v_add_f64_e64 v[44:45], v[44:45], -v[159:160]
	v_mul_f64_e32 v[52:53], s[0:1], v[88:89]
	v_add_f64_e64 v[46:47], v[46:47], -v[167:168]
	v_add_f64_e32 v[32:33], v[64:65], v[32:33]
	v_add_f64_e32 v[40:41], v[40:41], v[34:35]
	;; [unrolled: 1-line block ×3, first 2 shown]
	v_mul_f64_e32 v[64:65], s[6:7], v[110:111]
	v_add_f64_e64 v[52:53], v[52:53], -v[175:176]
	v_add_f64_e32 v[34:35], v[42:43], v[32:33]
	v_add_f64_e32 v[32:33], v[44:45], v[40:41]
	v_mul_f64_e32 v[40:41], s[22:23], v[76:77]
	v_mul_f64_e32 v[42:43], s[22:23], v[72:73]
	;; [unrolled: 1-line block ×3, first 2 shown]
	v_add_f64_e32 v[64:65], v[189:190], v[64:65]
	s_delay_alu instid0(VALU_DEP_4) | instskip(NEXT) | instid1(VALU_DEP_4)
	v_add_f64_e32 v[40:41], v[171:172], v[40:41]
	v_add_f64_e64 v[42:43], v[42:43], -v[161:162]
	s_delay_alu instid0(VALU_DEP_4) | instskip(NEXT) | instid1(VALU_DEP_3)
	v_add_f64_e32 v[44:45], v[179:180], v[44:45]
	v_add_f64_e32 v[36:37], v[40:41], v[36:37]
	s_delay_alu instid0(VALU_DEP_3) | instskip(SKIP_2) | instid1(VALU_DEP_4)
	v_add_f64_e32 v[38:39], v[42:43], v[38:39]
	v_mul_f64_e32 v[40:41], s[6:7], v[98:99]
	v_mul_f64_e32 v[42:43], s[20:21], v[116:117]
	v_add_f64_e32 v[36:37], v[44:45], v[36:37]
	s_delay_alu instid0(VALU_DEP_4) | instskip(NEXT) | instid1(VALU_DEP_4)
	v_add_f64_e32 v[38:39], v[46:47], v[38:39]
	v_add_f64_e64 v[40:41], v[40:41], -v[177:178]
	v_mul_f64_e32 v[44:45], s[20:21], v[106:107]
	v_add_f64_e32 v[42:43], v[185:186], v[42:43]
	v_mul_f64_e32 v[46:47], s[0:1], v[80:81]
	v_add_f64_e32 v[36:37], v[50:51], v[36:37]
	v_add_f64_e32 v[38:39], v[52:53], v[38:39]
	v_mul_f64_e32 v[50:51], s[16:17], v[102:103]
	v_add_f64_e64 v[44:45], v[44:45], -v[169:170]
	v_mul_f64_e32 v[52:53], s[16:17], v[88:89]
	v_add_f64_e64 v[46:47], v[46:47], -v[181:182]
	v_add_f64_e32 v[36:37], v[64:65], v[36:37]
	v_add_f64_e32 v[40:41], v[40:41], v[38:39]
	;; [unrolled: 1-line block ×3, first 2 shown]
	v_mul_f64_e32 v[64:65], s[22:23], v[110:111]
	v_add_f64_e64 v[52:53], v[52:53], -v[187:188]
	v_add_f64_e32 v[38:39], v[42:43], v[36:37]
	v_add_f64_e32 v[36:37], v[44:45], v[40:41]
	v_mul_f64_e32 v[40:41], s[20:21], v[76:77]
	v_mul_f64_e32 v[42:43], s[20:21], v[72:73]
	;; [unrolled: 1-line block ×3, first 2 shown]
	v_add_f64_e32 v[64:65], v[203:204], v[64:65]
	s_delay_alu instid0(VALU_DEP_4) | instskip(NEXT) | instid1(VALU_DEP_4)
	v_add_f64_e32 v[40:41], v[191:192], v[40:41]
	v_add_f64_e64 v[42:43], v[42:43], -v[173:174]
	s_delay_alu instid0(VALU_DEP_4) | instskip(NEXT) | instid1(VALU_DEP_3)
	v_add_f64_e32 v[44:45], v[195:196], v[44:45]
	v_add_f64_e32 v[40:41], v[40:41], v[60:61]
	s_delay_alu instid0(VALU_DEP_3) | instskip(SKIP_2) | instid1(VALU_DEP_4)
	v_add_f64_e32 v[42:43], v[42:43], v[62:63]
	v_mul_f64_e32 v[60:61], s[22:23], v[98:99]
	v_mul_f64_e32 v[62:63], s[22:23], v[88:89]
	v_add_f64_e32 v[40:41], v[44:45], v[40:41]
	s_delay_alu instid0(VALU_DEP_4) | instskip(NEXT) | instid1(VALU_DEP_4)
	v_add_f64_e32 v[42:43], v[46:47], v[42:43]
	v_add_f64_e64 v[60:61], v[60:61], -v[193:194]
	v_mul_f64_e32 v[44:45], s[6:7], v[116:117]
	v_mul_f64_e32 v[46:47], s[6:7], v[106:107]
	v_add_f64_e64 v[62:63], v[62:63], -v[211:212]
	v_add_f64_e32 v[40:41], v[50:51], v[40:41]
	v_add_f64_e32 v[42:43], v[52:53], v[42:43]
	v_mul_f64_e32 v[52:53], s[6:7], v[80:81]
	v_add_f64_e32 v[44:45], v[209:210], v[44:45]
	v_add_f64_e64 v[46:47], v[46:47], -v[197:198]
	v_add_f64_e32 v[40:41], v[64:65], v[40:41]
	v_add_f64_e32 v[50:51], v[60:61], v[42:43]
	v_add_f64_e64 v[52:53], v[52:53], -v[205:206]
	v_mul_f64_e32 v[60:61], s[22:23], v[102:103]
	v_mul_f64_e32 v[64:65], s[0:1], v[110:111]
	v_add_f64_e32 v[42:43], v[44:45], v[40:41]
	v_add_f64_e32 v[40:41], v[46:47], v[50:51]
	v_mul_f64_e32 v[44:45], s[16:17], v[76:77]
	v_mul_f64_e32 v[46:47], s[16:17], v[72:73]
	;; [unrolled: 1-line block ×3, first 2 shown]
	v_add_f64_e32 v[60:61], v[219:220], v[60:61]
	v_add_f64_e32 v[64:65], v[223:224], v[64:65]
	;; [unrolled: 1-line block ×3, first 2 shown]
	v_add_f64_e64 v[46:47], v[46:47], -v[199:200]
	v_add_f64_e32 v[50:51], v[217:218], v[50:51]
	s_delay_alu instid0(VALU_DEP_3) | instskip(NEXT) | instid1(VALU_DEP_3)
	v_add_f64_e32 v[44:45], v[44:45], v[56:57]
	v_add_f64_e32 v[46:47], v[46:47], v[58:59]
	v_mul_f64_e32 v[56:57], s[0:1], v[98:99]
	v_mul_f64_e32 v[58:59], s[16:17], v[80:81]
	s_delay_alu instid0(VALU_DEP_4) | instskip(NEXT) | instid1(VALU_DEP_4)
	v_add_f64_e32 v[44:45], v[50:51], v[44:45]
	v_add_f64_e32 v[46:47], v[52:53], v[46:47]
	s_delay_alu instid0(VALU_DEP_4)
	v_add_f64_e64 v[56:57], v[56:57], -v[213:214]
	v_mul_f64_e32 v[50:51], s[18:19], v[116:117]
	v_mul_f64_e32 v[52:53], s[18:19], v[106:107]
	v_add_f64_e64 v[58:59], v[58:59], -v[82:83]
	v_add_f64_e32 v[44:45], v[60:61], v[44:45]
	v_add_f64_e32 v[46:47], v[62:63], v[46:47]
	v_mul_f64_e32 v[60:61], s[18:19], v[102:103]
	v_add_f64_e32 v[50:51], v[221:222], v[50:51]
	v_add_f64_e64 v[52:53], v[52:53], -v[207:208]
	v_mul_f64_e32 v[62:63], s[18:19], v[88:89]
	v_add_f64_e32 v[44:45], v[64:65], v[44:45]
	v_add_f64_e32 v[56:57], v[56:57], v[46:47]
	;; [unrolled: 1-line block ×3, first 2 shown]
	v_mul_f64_e32 v[64:65], s[20:21], v[110:111]
	v_add_f64_e64 v[62:63], v[62:63], -v[90:91]
	v_add_f64_e32 v[46:47], v[50:51], v[44:45]
	v_add_f64_e32 v[44:45], v[52:53], v[56:57]
	v_mul_f64_e32 v[50:51], s[6:7], v[76:77]
	v_mul_f64_e32 v[52:53], s[6:7], v[72:73]
	;; [unrolled: 1-line block ×3, first 2 shown]
	v_add_f64_e32 v[64:65], v[112:113], v[64:65]
	s_delay_alu instid0(VALU_DEP_4) | instskip(NEXT) | instid1(VALU_DEP_4)
	v_add_f64_e32 v[50:51], v[78:79], v[50:51]
	v_add_f64_e64 v[52:53], v[52:53], -v[74:75]
	s_delay_alu instid0(VALU_DEP_4) | instskip(NEXT) | instid1(VALU_DEP_3)
	v_add_f64_e32 v[56:57], v[86:87], v[56:57]
	v_add_f64_e32 v[48:49], v[50:51], v[48:49]
	s_delay_alu instid0(VALU_DEP_3) | instskip(SKIP_2) | instid1(VALU_DEP_4)
	v_add_f64_e32 v[50:51], v[52:53], v[54:55]
	v_mul_f64_e32 v[52:53], s[20:21], v[98:99]
	v_mul_f64_e32 v[54:55], s[22:23], v[116:117]
	v_add_f64_e32 v[48:49], v[56:57], v[48:49]
	s_delay_alu instid0(VALU_DEP_4) | instskip(NEXT) | instid1(VALU_DEP_4)
	v_add_f64_e32 v[50:51], v[58:59], v[50:51]
	v_add_f64_e64 v[52:53], v[52:53], -v[100:101]
	v_mul_f64_e32 v[56:57], s[22:23], v[106:107]
	v_add_f64_e32 v[54:55], v[118:119], v[54:55]
	v_add_f64_e32 v[48:49], v[60:61], v[48:49]
	;; [unrolled: 1-line block ×3, first 2 shown]
	s_delay_alu instid0(VALU_DEP_4) | instskip(NEXT) | instid1(VALU_DEP_3)
	v_add_f64_e64 v[56:57], v[56:57], -v[108:109]
	v_add_f64_e32 v[48:49], v[64:65], v[48:49]
	s_delay_alu instid0(VALU_DEP_3) | instskip(NEXT) | instid1(VALU_DEP_2)
	v_add_f64_e32 v[52:53], v[52:53], v[50:51]
	v_add_f64_e32 v[50:51], v[54:55], v[48:49]
	s_delay_alu instid0(VALU_DEP_2) | instskip(SKIP_1) | instid1(VALU_DEP_1)
	v_add_f64_e32 v[48:49], v[56:57], v[52:53]
	v_and_b32_e32 v52, 0xffff, v242
	v_lshlrev_b32_e32 v52, 4, v52
	ds_store_b128 v52, v[32:35] offset:32
	ds_store_b128 v52, v[36:39] offset:48
	;; [unrolled: 1-line block ×11, first 2 shown]
	ds_store_b128 v52, v[24:27]
	ds_store_b128 v52, v[0:3] offset:192
.LBB0_7:
	s_or_b32 exec_lo, exec_lo, s33
	v_add_nc_u16 v52, v241, 0x68
	v_add_nc_u32_e32 v69, 0xd0, v241
	v_and_b32_e32 v20, 0xff, v241
	v_add_nc_u32_e32 v68, 0x138, v241
	s_load_b128 s[4:7], s[4:5], 0x0
	v_and_b32_e32 v21, 0xff, v52
	v_and_b32_e32 v22, 0xffff, v69
	v_mul_lo_u16 v76, 0x4f, v20
	v_and_b32_e32 v20, 0xffff, v68
	global_wb scope:SCOPE_SE
	s_wait_dscnt 0x0
	v_mul_lo_u16 v53, 0x4f, v21
	v_mul_u32_u24_e32 v71, 0x4ec5, v22
	v_lshrrev_b16 v77, 10, v76
	v_mul_u32_u24_e32 v70, 0x4ec5, v20
	s_wait_kmcnt 0x0
	s_barrier_signal -1
	v_lshrrev_b16 v78, 10, v53
	v_lshrrev_b32_e32 v79, 18, v71
	v_mul_lo_u16 v20, v77, 13
	v_lshrrev_b32_e32 v80, 18, v70
	s_barrier_wait -1
	v_mul_lo_u16 v21, v78, 13
	v_mul_lo_u16 v22, v79, 13
	v_sub_nc_u16 v20, v241, v20
	v_mul_lo_u16 v23, v80, 13
	global_inv scope:SCOPE_SE
	v_sub_nc_u16 v21, v52, v21
	v_sub_nc_u16 v81, v69, v22
	v_and_b32_e32 v82, 0xff, v20
	v_sub_nc_u16 v83, v68, v23
	v_and_b32_e32 v36, 0xffff, v241
	v_and_b32_e32 v84, 0xff, v21
	;; [unrolled: 1-line block ×3, first 2 shown]
	v_lshlrev_b32_e32 v21, 4, v82
	v_and_b32_e32 v22, 0xffff, v83
	v_lshlrev_b32_e32 v141, 4, v36
	v_lshlrev_b32_e32 v23, 4, v84
	v_lshlrev_b32_e32 v20, 4, v20
	global_load_b128 v[28:31], v21, s[2:3]
	v_lshlrev_b32_e32 v21, 4, v22
	v_lshrrev_b16 v106, 11, v76
	s_clause 0x2
	global_load_b128 v[32:35], v23, s[2:3]
	global_load_b128 v[24:27], v20, s[2:3]
	;; [unrolled: 1-line block ×3, first 2 shown]
	ds_load_b128 v[36:39], v141 offset:6656
	ds_load_b128 v[40:43], v141 offset:8320
	;; [unrolled: 1-line block ×4, first 2 shown]
	v_lshrrev_b16 v107, 11, v53
	v_lshrrev_b32_e32 v108, 19, v71
	v_lshrrev_b32_e32 v109, 19, v70
	v_and_b32_e32 v76, 0xffff, v78
	v_lshrrev_b32_e32 v114, 20, v70
	v_lshrrev_b32_e32 v70, 21, v70
	v_mul_lo_u16 v78, v108, 26
	v_mul_lo_u16 v85, v109, 26
	v_mul_u32_u24_e32 v76, 26, v76
	v_lshlrev_b32_e32 v120, 4, v241
	v_mul_lo_u16 v70, 0x68, v70
	v_sub_nc_u16 v111, v69, v78
	v_sub_nc_u16 v112, v68, v85
	v_add_lshl_u32 v144, v76, v84, 4
	s_wait_loadcnt_dscnt 0x303
	v_mul_f64_e32 v[54:55], v[38:39], v[30:31]
	v_mul_f64_e32 v[56:57], v[36:37], v[30:31]
	s_wait_loadcnt_dscnt 0x202
	v_mul_f64_e32 v[58:59], v[42:43], v[34:35]
	v_mul_f64_e32 v[60:61], v[40:41], v[34:35]
	;; [unrolled: 3-line block ×4, first 2 shown]
	v_fma_f64 v[54:55], v[36:37], v[28:29], -v[54:55]
	v_fma_f64 v[56:57], v[38:39], v[28:29], v[56:57]
	v_fma_f64 v[58:59], v[40:41], v[32:33], -v[58:59]
	v_fma_f64 v[60:61], v[42:43], v[32:33], v[60:61]
	;; [unrolled: 2-line block ×4, first 2 shown]
	ds_load_b128 v[36:39], v141
	ds_load_b128 v[40:43], v141 offset:1664
	ds_load_b128 v[44:47], v141 offset:3328
	ds_load_b128 v[48:51], v141 offset:4992
	global_wb scope:SCOPE_SE
	s_wait_dscnt 0x0
	s_barrier_signal -1
	s_barrier_wait -1
	global_inv scope:SCOPE_SE
	v_add_f64_e64 v[54:55], v[36:37], -v[54:55]
	v_add_f64_e64 v[56:57], v[38:39], -v[56:57]
	;; [unrolled: 1-line block ×8, first 2 shown]
	v_and_b32_e32 v66, 0xffff, v77
	v_mul_lo_u16 v67, v106, 26
	v_mul_lo_u16 v77, v107, 26
	s_delay_alu instid0(VALU_DEP_3) | instskip(NEXT) | instid1(VALU_DEP_3)
	v_mul_u32_u24_e32 v66, 26, v66
	v_sub_nc_u16 v67, v241, v67
	s_delay_alu instid0(VALU_DEP_2) | instskip(NEXT) | instid1(VALU_DEP_2)
	v_add_lshl_u32 v145, v66, v82, 4
	v_and_b32_e32 v110, 0xff, v67
	v_sub_nc_u16 v67, v52, v77
	v_mad_u16 v66, v79, 26, v81
	v_mad_u16 v77, v80, 26, v83
	v_and_b32_e32 v79, 0xffff, v112
	v_lshlrev_b32_e32 v78, 4, v110
	v_and_b32_e32 v113, 0xff, v67
	v_and_b32_e32 v66, 0xffff, v66
	;; [unrolled: 1-line block ×4, first 2 shown]
	s_delay_alu instid0(VALU_DEP_4) | instskip(NEXT) | instid1(VALU_DEP_4)
	v_lshlrev_b32_e32 v77, 4, v113
	v_lshlrev_b32_e32 v143, 4, v66
	s_delay_alu instid0(VALU_DEP_4) | instskip(NEXT) | instid1(VALU_DEP_4)
	v_lshlrev_b32_e32 v67, 4, v67
	v_lshlrev_b32_e32 v142, 4, v76
	v_fma_f64 v[36:37], v[36:37], 2.0, -v[54:55]
	v_fma_f64 v[38:39], v[38:39], 2.0, -v[56:57]
	;; [unrolled: 1-line block ×8, first 2 shown]
	ds_store_b128 v145, v[36:39]
	ds_store_b128 v145, v[54:57] offset:208
	ds_store_b128 v144, v[40:43]
	ds_store_b128 v144, v[58:61] offset:208
	;; [unrolled: 2-line block ×4, first 2 shown]
	global_wb scope:SCOPE_SE
	s_wait_dscnt 0x0
	s_barrier_signal -1
	s_barrier_wait -1
	global_inv scope:SCOPE_SE
	global_load_b128 v[44:47], v78, s[2:3] offset:208
	v_lshlrev_b32_e32 v36, 4, v79
	s_clause 0x2
	global_load_b128 v[48:51], v77, s[2:3] offset:208
	global_load_b128 v[40:43], v67, s[2:3] offset:208
	;; [unrolled: 1-line block ×3, first 2 shown]
	ds_load_b128 v[54:57], v141 offset:6656
	ds_load_b128 v[58:61], v141 offset:8320
	;; [unrolled: 1-line block ×4, first 2 shown]
	s_wait_loadcnt_dscnt 0x303
	v_mul_f64_e32 v[66:67], v[56:57], v[46:47]
	v_mul_f64_e32 v[76:77], v[54:55], v[46:47]
	s_wait_loadcnt_dscnt 0x202
	v_mul_f64_e32 v[78:79], v[60:61], v[50:51]
	v_mul_f64_e32 v[80:81], v[58:59], v[50:51]
	s_wait_loadcnt_dscnt 0x101
	v_mul_f64_e32 v[82:83], v[64:65], v[42:43]
	v_mul_f64_e32 v[84:85], v[62:63], v[42:43]
	s_wait_loadcnt_dscnt 0x0
	v_mul_f64_e32 v[86:87], v[74:75], v[38:39]
	v_mul_f64_e32 v[88:89], v[72:73], v[38:39]
	v_fma_f64 v[66:67], v[54:55], v[44:45], -v[66:67]
	v_fma_f64 v[90:91], v[56:57], v[44:45], v[76:77]
	v_fma_f64 v[92:93], v[58:59], v[48:49], -v[78:79]
	v_fma_f64 v[94:95], v[60:61], v[48:49], v[80:81]
	;; [unrolled: 2-line block ×4, first 2 shown]
	ds_load_b128 v[54:57], v141
	ds_load_b128 v[58:61], v141 offset:1664
	ds_load_b128 v[62:65], v141 offset:3328
	;; [unrolled: 1-line block ×3, first 2 shown]
	global_wb scope:SCOPE_SE
	s_wait_dscnt 0x0
	s_barrier_signal -1
	s_barrier_wait -1
	global_inv scope:SCOPE_SE
	v_add_f64_e64 v[76:77], v[54:55], -v[66:67]
	v_add_f64_e64 v[78:79], v[56:57], -v[90:91]
	;; [unrolled: 1-line block ×8, first 2 shown]
	v_add_co_u32 v66, s0, 0xffffffcc, v241
	s_wait_alu 0xf1ff
	v_add_co_ci_u32_e64 v67, null, 0, -1, s0
	v_cmp_gt_u16_e64 s0, 52, v241
	v_and_b32_e32 v92, 0xffff, v106
	v_lshrrev_b32_e32 v106, 20, v71
	v_mul_lo_u16 v95, v114, 52
	v_lshrrev_b32_e32 v71, 21, v71
	s_wait_alu 0xf1ff
	v_cndmask_b32_e64 v105, v67, 0, s0
	v_cndmask_b32_e64 v104, v66, v241, s0
	v_mul_u32_u24_e32 v92, 52, v92
	v_mul_lo_u16 v94, v106, 52
	v_sub_nc_u16 v115, v68, v95
	v_mul_lo_u16 v71, 0x68, v71
	v_lshlrev_b64_e32 v[66:67], 4, v[104:105]
	v_lshrrev_b16 v105, 12, v53
	v_add_lshl_u32 v208, v92, v110, 4
	v_mad_u16 v92, v108, 52, v111
	v_sub_nc_u16 v68, v68, v70
	s_delay_alu instid0(VALU_DEP_4) | instskip(NEXT) | instid1(VALU_DEP_3)
	v_mul_lo_u16 v93, v105, 52
	v_and_b32_e32 v92, 0xffff, v92
	s_delay_alu instid0(VALU_DEP_3) | instskip(NEXT) | instid1(VALU_DEP_3)
	v_and_b32_e32 v68, 0xffff, v68
	v_sub_nc_u16 v52, v52, v93
	v_mad_u16 v93, v109, 52, v112
	s_delay_alu instid0(VALU_DEP_4) | instskip(NEXT) | instid1(VALU_DEP_4)
	v_lshlrev_b32_e32 v149, 4, v92
	v_lshlrev_b32_e32 v147, 4, v68
	v_fma_f64 v[53:54], v[54:55], 2.0, -v[76:77]
	v_fma_f64 v[55:56], v[56:57], 2.0, -v[78:79]
	;; [unrolled: 1-line block ×8, first 2 shown]
	v_add_co_u32 v65, s0, s2, v66
	s_wait_alu 0xf1ff
	v_add_co_ci_u32_e64 v66, s0, s3, v67, s0
	v_and_b32_e32 v67, 0xffff, v107
	v_sub_nc_u16 v107, v69, v94
	v_and_b32_e32 v108, 0xff, v52
	v_and_b32_e32 v93, 0xffff, v93
	;; [unrolled: 1-line block ×3, first 2 shown]
	v_mul_u32_u24_e32 v67, 52, v67
	v_and_b32_e32 v52, 0xffff, v107
	v_cmp_lt_u16_e64 s0, 51, v241
	v_lshlrev_b32_e32 v148, 4, v93
	v_sub_nc_u16 v69, v69, v71
	v_add_lshl_u32 v220, v67, v113, 4
	v_lshlrev_b32_e32 v67, 4, v108
	v_lshlrev_b32_e32 v52, 4, v52
	s_wait_alu 0xf1ff
	v_cndmask_b32_e64 v109, 0, 0x68, s0
	v_mad_u16 v71, 0x68, v106, v107
	v_and_b32_e32 v69, 0xffff, v69
	ds_store_b128 v208, v[53:56]
	ds_store_b128 v208, v[76:79] offset:416
	ds_store_b128 v220, v[57:60]
	ds_store_b128 v220, v[80:83] offset:416
	;; [unrolled: 2-line block ×4, first 2 shown]
	global_wb scope:SCOPE_SE
	s_wait_dscnt 0x0
	s_barrier_signal -1
	s_barrier_wait -1
	global_inv scope:SCOPE_SE
	global_load_b128 v[60:63], v[65:66], off offset:624
	v_lshlrev_b32_e32 v53, 4, v94
	s_clause 0x2
	global_load_b128 v[64:67], v67, s[2:3] offset:624
	global_load_b128 v[56:59], v52, s[2:3] offset:624
	global_load_b128 v[52:55], v53, s[2:3] offset:624
	ds_load_b128 v[72:75], v141 offset:6656
	ds_load_b128 v[76:79], v141 offset:8320
	;; [unrolled: 1-line block ×4, first 2 shown]
	v_add_lshl_u32 v222, v104, v109, 4
	v_and_b32_e32 v104, 0xffff, v105
	v_mad_u16 v105, 0x68, v114, v115
	v_and_b32_e32 v71, 0xffff, v71
	v_lshlrev_b32_e32 v146, 4, v69
	s_delay_alu instid0(VALU_DEP_4) | instskip(NEXT) | instid1(VALU_DEP_4)
	v_mul_u32_u24_e32 v70, 0x68, v104
	v_and_b32_e32 v104, 0xffff, v105
	s_delay_alu instid0(VALU_DEP_4) | instskip(NEXT) | instid1(VALU_DEP_3)
	v_lshlrev_b32_e32 v210, 4, v71
	v_add_lshl_u32 v221, v70, v108, 4
	s_delay_alu instid0(VALU_DEP_3)
	v_lshlrev_b32_e32 v223, 4, v104
	s_wait_loadcnt_dscnt 0x303
	v_mul_f64_e32 v[88:89], v[74:75], v[62:63]
	v_mul_f64_e32 v[90:91], v[72:73], v[62:63]
	s_wait_loadcnt_dscnt 0x202
	v_mul_f64_e32 v[92:93], v[78:79], v[66:67]
	v_mul_f64_e32 v[94:95], v[76:77], v[66:67]
	;; [unrolled: 3-line block ×4, first 2 shown]
	v_fma_f64 v[88:89], v[72:73], v[60:61], -v[88:89]
	v_fma_f64 v[90:91], v[74:75], v[60:61], v[90:91]
	v_fma_f64 v[92:93], v[76:77], v[64:65], -v[92:93]
	v_fma_f64 v[94:95], v[78:79], v[64:65], v[94:95]
	;; [unrolled: 2-line block ×4, first 2 shown]
	ds_load_b128 v[72:75], v141
	ds_load_b128 v[76:79], v141 offset:1664
	ds_load_b128 v[80:83], v141 offset:3328
	;; [unrolled: 1-line block ×3, first 2 shown]
	global_wb scope:SCOPE_SE
	s_wait_dscnt 0x0
	s_barrier_signal -1
	s_barrier_wait -1
	global_inv scope:SCOPE_SE
	v_add_f64_e64 v[88:89], v[72:73], -v[88:89]
	v_add_f64_e64 v[90:91], v[74:75], -v[90:91]
	;; [unrolled: 1-line block ×8, first 2 shown]
	v_fma_f64 v[72:73], v[72:73], 2.0, -v[88:89]
	v_fma_f64 v[74:75], v[74:75], 2.0, -v[90:91]
	;; [unrolled: 1-line block ×8, first 2 shown]
	ds_store_b128 v222, v[72:75]
	ds_store_b128 v222, v[88:91] offset:832
	ds_store_b128 v221, v[76:79]
	ds_store_b128 v221, v[92:95] offset:832
	;; [unrolled: 2-line block ×4, first 2 shown]
	global_wb scope:SCOPE_SE
	s_wait_dscnt 0x0
	s_barrier_signal -1
	s_barrier_wait -1
	global_inv scope:SCOPE_SE
	s_clause 0x2
	global_load_b128 v[72:75], v120, s[2:3] offset:1456
	global_load_b128 v[76:79], v146, s[2:3] offset:1456
	;; [unrolled: 1-line block ×3, first 2 shown]
	ds_load_b128 v[80:83], v141 offset:6656
	ds_load_b128 v[84:87], v141 offset:8320
	;; [unrolled: 1-line block ×4, first 2 shown]
	s_wait_loadcnt_dscnt 0x101
	v_mul_f64_e32 v[104:105], v[90:91], v[78:79]
	v_mul_f64_e32 v[96:97], v[82:83], v[74:75]
	;; [unrolled: 1-line block ×6, first 2 shown]
	s_wait_loadcnt_dscnt 0x0
	v_mul_f64_e32 v[108:109], v[94:95], v[70:71]
	v_mul_f64_e32 v[110:111], v[92:93], v[70:71]
	v_fma_f64 v[104:105], v[88:89], v[76:77], -v[104:105]
	v_fma_f64 v[96:97], v[80:81], v[72:73], -v[96:97]
	v_fma_f64 v[98:99], v[82:83], v[72:73], v[98:99]
	v_fma_f64 v[100:101], v[84:85], v[72:73], -v[100:101]
	v_fma_f64 v[102:103], v[86:87], v[72:73], v[102:103]
	v_fma_f64 v[106:107], v[90:91], v[76:77], v[106:107]
	v_fma_f64 v[108:109], v[92:93], v[68:69], -v[108:109]
	v_fma_f64 v[110:111], v[94:95], v[68:69], v[110:111]
	ds_load_b128 v[80:83], v141
	ds_load_b128 v[84:87], v141 offset:1664
	ds_load_b128 v[88:91], v141 offset:3328
	;; [unrolled: 1-line block ×3, first 2 shown]
	global_wb scope:SCOPE_SE
	s_wait_dscnt 0x0
	s_barrier_signal -1
	s_barrier_wait -1
	global_inv scope:SCOPE_SE
	v_add_f64_e64 v[104:105], v[88:89], -v[104:105]
	v_add_f64_e64 v[96:97], v[80:81], -v[96:97]
	v_add_f64_e64 v[98:99], v[82:83], -v[98:99]
	v_add_f64_e64 v[100:101], v[84:85], -v[100:101]
	v_add_f64_e64 v[102:103], v[86:87], -v[102:103]
	v_add_f64_e64 v[106:107], v[90:91], -v[106:107]
	v_add_f64_e64 v[108:109], v[92:93], -v[108:109]
	v_add_f64_e64 v[110:111], v[94:95], -v[110:111]
	v_fma_f64 v[88:89], v[88:89], 2.0, -v[104:105]
	v_fma_f64 v[80:81], v[80:81], 2.0, -v[96:97]
	;; [unrolled: 1-line block ×8, first 2 shown]
	ds_store_b128 v141, v[80:83]
	ds_store_b128 v141, v[96:99] offset:1664
	ds_store_b128 v141, v[84:87] offset:3328
	;; [unrolled: 1-line block ×7, first 2 shown]
	global_wb scope:SCOPE_SE
	s_wait_dscnt 0x0
	s_barrier_signal -1
	s_barrier_wait -1
	global_inv scope:SCOPE_SE
	s_clause 0x1
	global_load_b128 v[80:83], v120, s[2:3] offset:3120
	global_load_b128 v[84:87], v120, s[2:3] offset:4784
	ds_load_b128 v[88:91], v141 offset:6656
	ds_load_b128 v[92:95], v141 offset:8320
	;; [unrolled: 1-line block ×4, first 2 shown]
	s_wait_loadcnt_dscnt 0x103
	v_mul_f64_e32 v[104:105], v[90:91], v[82:83]
	v_mul_f64_e32 v[106:107], v[88:89], v[82:83]
	s_wait_loadcnt_dscnt 0x2
	v_mul_f64_e32 v[108:109], v[94:95], v[86:87]
	v_mul_f64_e32 v[110:111], v[92:93], v[86:87]
	s_wait_dscnt 0x1
	v_mul_f64_e32 v[112:113], v[98:99], v[82:83]
	v_mul_f64_e32 v[114:115], v[96:97], v[82:83]
	s_wait_dscnt 0x0
	v_mul_f64_e32 v[116:117], v[102:103], v[86:87]
	v_mul_f64_e32 v[118:119], v[100:101], v[86:87]
	v_fma_f64 v[104:105], v[88:89], v[80:81], -v[104:105]
	v_fma_f64 v[106:107], v[90:91], v[80:81], v[106:107]
	v_fma_f64 v[108:109], v[92:93], v[84:85], -v[108:109]
	v_fma_f64 v[110:111], v[94:95], v[84:85], v[110:111]
	;; [unrolled: 2-line block ×4, first 2 shown]
	ds_load_b128 v[88:91], v141
	ds_load_b128 v[92:95], v141 offset:1664
	ds_load_b128 v[96:99], v141 offset:3328
	;; [unrolled: 1-line block ×3, first 2 shown]
	global_wb scope:SCOPE_SE
	s_wait_dscnt 0x0
	s_barrier_signal -1
	s_barrier_wait -1
	global_inv scope:SCOPE_SE
	v_add_f64_e64 v[104:105], v[88:89], -v[104:105]
	v_add_f64_e64 v[106:107], v[90:91], -v[106:107]
	;; [unrolled: 1-line block ×8, first 2 shown]
	v_fma_f64 v[88:89], v[88:89], 2.0, -v[104:105]
	v_fma_f64 v[90:91], v[90:91], 2.0, -v[106:107]
	;; [unrolled: 1-line block ×8, first 2 shown]
	ds_store_b128 v141, v[104:107] offset:3328
	ds_store_b128 v141, v[108:111] offset:4992
	;; [unrolled: 1-line block ×4, first 2 shown]
	ds_store_b128 v141, v[88:91]
	ds_store_b128 v141, v[92:95] offset:1664
	ds_store_b128 v141, v[96:99] offset:6656
	;; [unrolled: 1-line block ×3, first 2 shown]
	global_wb scope:SCOPE_SE
	s_wait_dscnt 0x0
	s_barrier_signal -1
	s_barrier_wait -1
	global_inv scope:SCOPE_SE
	s_clause 0x3
	global_load_b128 v[88:91], v120, s[2:3] offset:6448
	global_load_b128 v[92:95], v120, s[2:3] offset:8112
	;; [unrolled: 1-line block ×4, first 2 shown]
	ds_load_b128 v[104:107], v141 offset:6656
	ds_load_b128 v[108:111], v141 offset:8320
	;; [unrolled: 1-line block ×4, first 2 shown]
	s_wait_loadcnt_dscnt 0x303
	v_mul_f64_e32 v[120:121], v[106:107], v[90:91]
	v_mul_f64_e32 v[122:123], v[104:105], v[90:91]
	s_wait_loadcnt_dscnt 0x202
	v_mul_f64_e32 v[124:125], v[110:111], v[94:95]
	v_mul_f64_e32 v[126:127], v[108:109], v[94:95]
	;; [unrolled: 3-line block ×4, first 2 shown]
	v_fma_f64 v[137:138], v[104:105], v[88:89], -v[120:121]
	v_fma_f64 v[139:140], v[106:107], v[88:89], v[122:123]
	v_fma_f64 v[124:125], v[108:109], v[92:93], -v[124:125]
	v_fma_f64 v[126:127], v[110:111], v[92:93], v[126:127]
	v_fma_f64 v[128:129], v[112:113], v[96:97], -v[128:129]
	v_fma_f64 v[130:131], v[114:115], v[96:97], v[130:131]
	v_fma_f64 v[156:157], v[116:117], v[100:101], -v[132:133]
	v_fma_f64 v[158:159], v[118:119], v[100:101], v[134:135]
	ds_load_b128 v[104:107], v141
	ds_load_b128 v[112:115], v141 offset:1664
	ds_load_b128 v[120:123], v141 offset:3328
	;; [unrolled: 1-line block ×3, first 2 shown]
	s_wait_dscnt 0x3
	v_add_f64_e64 v[108:109], v[104:105], -v[137:138]
	v_add_f64_e64 v[110:111], v[106:107], -v[139:140]
	s_wait_dscnt 0x2
	v_add_f64_e64 v[116:117], v[112:113], -v[124:125]
	v_add_f64_e64 v[118:119], v[114:115], -v[126:127]
	;; [unrolled: 3-line block ×4, first 2 shown]
	v_fma_f64 v[104:105], v[104:105], 2.0, -v[108:109]
	v_fma_f64 v[106:107], v[106:107], 2.0, -v[110:111]
	;; [unrolled: 1-line block ×8, first 2 shown]
	ds_store_b128 v141, v[108:111] offset:6656
	ds_store_b128 v141, v[116:119] offset:8320
	ds_store_b128 v141, v[124:127] offset:9984
	ds_store_b128 v141, v[128:131] offset:11648
	ds_store_b128 v141, v[104:107]
	ds_store_b128 v141, v[112:115] offset:1664
	ds_store_b128 v141, v[120:123] offset:3328
	;; [unrolled: 1-line block ×3, first 2 shown]
	global_wb scope:SCOPE_SE
	s_wait_dscnt 0x0
	s_barrier_signal -1
	s_barrier_wait -1
	global_inv scope:SCOPE_SE
	s_and_saveexec_b32 s2, vcc_lo
	s_cbranch_execz .LBB0_9
; %bb.8:
	global_load_b128 v[137:140], v254, s[12:13] offset:13312
	s_add_nc_u64 s[0:1], s[12:13], 0x3400
	s_clause 0x6
	global_load_b128 v[156:159], v254, s[0:1] offset:1024
	global_load_b128 v[160:163], v254, s[0:1] offset:2048
	;; [unrolled: 1-line block ×7, first 2 shown]
	ds_load_b128 v[176:179], v141
	s_wait_loadcnt_dscnt 0x700
	v_mul_f64_e32 v[188:189], v[178:179], v[139:140]
	v_mul_f64_e32 v[139:140], v[176:177], v[139:140]
	s_delay_alu instid0(VALU_DEP_2) | instskip(NEXT) | instid1(VALU_DEP_2)
	v_fma_f64 v[176:177], v[176:177], v[137:138], -v[188:189]
	v_fma_f64 v[178:179], v[178:179], v[137:138], v[139:140]
	ds_store_b128 v141, v[176:179]
	ds_load_b128 v[137:140], v254 offset:1024
	ds_load_b128 v[176:179], v254 offset:2048
	s_wait_loadcnt_dscnt 0x601
	v_mul_f64_e32 v[188:189], v[139:140], v[158:159]
	v_mul_f64_e32 v[158:159], v[137:138], v[158:159]
	s_delay_alu instid0(VALU_DEP_2) | instskip(SKIP_3) | instid1(VALU_DEP_4)
	v_fma_f64 v[137:138], v[137:138], v[156:157], -v[188:189]
	s_wait_loadcnt_dscnt 0x500
	v_mul_f64_e32 v[188:189], v[178:179], v[162:163]
	v_mul_f64_e32 v[162:163], v[176:177], v[162:163]
	v_fma_f64 v[139:140], v[139:140], v[156:157], v[158:159]
	ds_load_b128 v[156:159], v254 offset:3072
	v_fma_f64 v[176:177], v[176:177], v[160:161], -v[188:189]
	v_fma_f64 v[178:179], v[178:179], v[160:161], v[162:163]
	ds_load_b128 v[160:163], v254 offset:4096
	s_wait_loadcnt_dscnt 0x401
	v_mul_f64_e32 v[188:189], v[158:159], v[166:167]
	v_mul_f64_e32 v[166:167], v[156:157], v[166:167]
	s_delay_alu instid0(VALU_DEP_2) | instskip(SKIP_3) | instid1(VALU_DEP_4)
	v_fma_f64 v[156:157], v[156:157], v[164:165], -v[188:189]
	s_wait_loadcnt_dscnt 0x300
	v_mul_f64_e32 v[188:189], v[162:163], v[170:171]
	v_mul_f64_e32 v[170:171], v[160:161], v[170:171]
	v_fma_f64 v[158:159], v[158:159], v[164:165], v[166:167]
	ds_load_b128 v[164:167], v254 offset:5120
	v_fma_f64 v[160:161], v[160:161], v[168:169], -v[188:189]
	v_fma_f64 v[162:163], v[162:163], v[168:169], v[170:171]
	;; [unrolled: 13-line block ×3, first 2 shown]
	ds_load_b128 v[180:183], v254 offset:8192
	s_wait_loadcnt_dscnt 0x1
	v_mul_f64_e32 v[188:189], v[174:175], v[186:187]
	v_mul_f64_e32 v[186:187], v[172:173], v[186:187]
	s_delay_alu instid0(VALU_DEP_2) | instskip(NEXT) | instid1(VALU_DEP_2)
	v_fma_f64 v[172:173], v[172:173], v[184:185], -v[188:189]
	v_fma_f64 v[174:175], v[174:175], v[184:185], v[186:187]
	s_clause 0x1
	global_load_b128 v[184:187], v254, s[0:1] offset:8192
	global_load_b128 v[188:191], v254, s[0:1] offset:9216
	s_wait_loadcnt_dscnt 0x100
	v_mul_f64_e32 v[192:193], v[182:183], v[186:187]
	v_mul_f64_e32 v[186:187], v[180:181], v[186:187]
	s_delay_alu instid0(VALU_DEP_2) | instskip(NEXT) | instid1(VALU_DEP_2)
	v_fma_f64 v[180:181], v[180:181], v[184:185], -v[192:193]
	v_fma_f64 v[182:183], v[182:183], v[184:185], v[186:187]
	ds_load_b128 v[184:187], v254 offset:9216
	ds_load_b128 v[192:195], v254 offset:10240
	s_wait_loadcnt_dscnt 0x1
	v_mul_f64_e32 v[196:197], v[186:187], v[190:191]
	v_mul_f64_e32 v[190:191], v[184:185], v[190:191]
	s_delay_alu instid0(VALU_DEP_2) | instskip(NEXT) | instid1(VALU_DEP_2)
	v_fma_f64 v[184:185], v[184:185], v[188:189], -v[196:197]
	v_fma_f64 v[186:187], v[186:187], v[188:189], v[190:191]
	s_clause 0x1
	global_load_b128 v[188:191], v254, s[0:1] offset:10240
	global_load_b128 v[196:199], v254, s[0:1] offset:11264
	s_wait_loadcnt_dscnt 0x100
	v_mul_f64_e32 v[200:201], v[194:195], v[190:191]
	v_mul_f64_e32 v[202:203], v[192:193], v[190:191]
	s_delay_alu instid0(VALU_DEP_2) | instskip(NEXT) | instid1(VALU_DEP_2)
	v_fma_f64 v[190:191], v[192:193], v[188:189], -v[200:201]
	v_fma_f64 v[192:193], v[194:195], v[188:189], v[202:203]
	ds_load_b128 v[200:203], v254 offset:11264
	ds_load_b128 v[204:207], v254 offset:12288
	s_wait_loadcnt_dscnt 0x1
	v_mul_f64_e32 v[188:189], v[202:203], v[198:199]
	v_mul_f64_e32 v[198:199], v[200:201], v[198:199]
	s_delay_alu instid0(VALU_DEP_2) | instskip(NEXT) | instid1(VALU_DEP_2)
	v_fma_f64 v[194:195], v[200:201], v[196:197], -v[188:189]
	v_fma_f64 v[196:197], v[202:203], v[196:197], v[198:199]
	global_load_b128 v[198:201], v254, s[0:1] offset:12288
	s_wait_loadcnt_dscnt 0x0
	v_mul_f64_e32 v[188:189], v[206:207], v[200:201]
	v_mul_f64_e32 v[202:203], v[204:205], v[200:201]
	s_delay_alu instid0(VALU_DEP_2) | instskip(NEXT) | instid1(VALU_DEP_2)
	v_fma_f64 v[200:201], v[204:205], v[198:199], -v[188:189]
	v_fma_f64 v[202:203], v[206:207], v[198:199], v[202:203]
	ds_store_b128 v254, v[137:140] offset:1024
	ds_store_b128 v254, v[176:179] offset:2048
	;; [unrolled: 1-line block ×12, first 2 shown]
.LBB0_9:
	s_wait_alu 0xfffe
	s_or_b32 exec_lo, exec_lo, s2
	global_wb scope:SCOPE_SE
	s_wait_dscnt 0x0
	s_barrier_signal -1
	s_barrier_wait -1
	global_inv scope:SCOPE_SE
	s_and_saveexec_b32 s0, vcc_lo
	s_cbranch_execz .LBB0_11
; %bb.10:
	ds_load_b128 v[104:107], v141
	ds_load_b128 v[108:111], v141 offset:1024
	ds_load_b128 v[112:115], v141 offset:2048
	;; [unrolled: 1-line block ×12, first 2 shown]
.LBB0_11:
	s_wait_alu 0xfffe
	s_or_b32 exec_lo, exec_lo, s0
	global_wb scope:SCOPE_SE
	s_wait_dscnt 0x0
	s_barrier_signal -1
	s_barrier_wait -1
	global_inv scope:SCOPE_SE
	s_and_saveexec_b32 s33, vcc_lo
	s_cbranch_execz .LBB0_13
; %bb.12:
	v_add_f64_e32 v[137:138], v[106:107], v[110:111]
	v_add_f64_e32 v[139:140], v[104:105], v[108:109]
	v_add_f64_e64 v[164:165], v[120:121], -v[12:13]
	v_add_f64_e64 v[166:167], v[122:123], -v[14:15]
	;; [unrolled: 1-line block ×3, first 2 shown]
	v_add_f64_e32 v[170:171], v[118:119], v[10:11]
	v_add_f64_e64 v[172:173], v[118:119], -v[10:11]
	v_add_f64_e32 v[174:175], v[116:117], v[8:9]
	v_add_f64_e64 v[176:177], v[112:113], -v[4:5]
	v_add_f64_e64 v[178:179], v[114:115], -v[6:7]
	v_add_f64_e32 v[180:181], v[114:115], v[6:7]
	v_add_f64_e32 v[182:183], v[112:113], v[4:5]
	s_mov_b32 s36, 0x4267c47c
	s_mov_b32 s30, 0x66966769
	;; [unrolled: 1-line block ×13, first 2 shown]
	s_wait_alu 0xfffe
	s_mov_b32 s26, s34
	s_mov_b32 s24, s30
	;; [unrolled: 1-line block ×13, first 2 shown]
	v_add_f64_e32 v[137:138], v[137:138], v[114:115]
	v_add_f64_e32 v[139:140], v[139:140], v[112:113]
	v_dual_mov_b32 v155, v242 :: v_dual_mov_b32 v20, v148
	v_dual_mov_b32 v23, v149 :: v_dual_mov_b32 v148, v248
	;; [unrolled: 1-line block ×3, first 2 shown]
	s_clause 0x1
	scratch_store_b32 off, v208, off offset:4
	scratch_store_b32 off, v210, off
	v_mov_b32_e32 v240, v247
	v_add_f64_e32 v[137:138], v[137:138], v[118:119]
	v_add_f64_e32 v[139:140], v[139:140], v[116:117]
	s_delay_alu instid0(VALU_DEP_2) | instskip(NEXT) | instid1(VALU_DEP_2)
	v_add_f64_e32 v[137:138], v[137:138], v[122:123]
	v_add_f64_e32 v[139:140], v[139:140], v[120:121]
	s_delay_alu instid0(VALU_DEP_2) | instskip(NEXT) | instid1(VALU_DEP_2)
	;; [unrolled: 3-line block ×3, first 2 shown]
	v_add_f64_e32 v[156:157], v[137:138], v[134:135]
	v_add_f64_e32 v[158:159], v[139:140], v[132:133]
	v_add_f64_e64 v[139:140], v[132:133], -v[128:129]
	v_add_f64_e32 v[137:138], v[134:135], v[130:131]
	v_add_f64_e64 v[134:135], v[134:135], -v[130:131]
	v_add_f64_e32 v[132:133], v[132:133], v[128:129]
	v_add_f64_e32 v[156:157], v[156:157], v[130:131]
	;; [unrolled: 1-line block ×3, first 2 shown]
	v_add_f64_e64 v[130:131], v[124:125], -v[16:17]
	v_add_f64_e32 v[128:129], v[126:127], v[18:19]
	v_add_f64_e64 v[126:127], v[126:127], -v[18:19]
	v_add_f64_e32 v[124:125], v[124:125], v[16:17]
	v_mul_f64_e32 v[160:161], s[36:37], v[139:140]
	v_mul_f64_e32 v[162:163], s[36:37], v[134:135]
	;; [unrolled: 1-line block ×4, first 2 shown]
	v_add_f64_e32 v[156:157], v[156:157], v[18:19]
	v_add_f64_e32 v[158:159], v[158:159], v[16:17]
	;; [unrolled: 1-line block ×4, first 2 shown]
	v_mul_f64_e32 v[112:113], s[36:37], v[130:131]
	v_mul_f64_e32 v[114:115], s[36:37], v[126:127]
	;; [unrolled: 1-line block ×4, first 2 shown]
	v_add_f64_e32 v[14:15], v[156:157], v[14:15]
	v_add_f64_e32 v[12:13], v[158:159], v[12:13]
	v_mul_f64_e32 v[156:157], s[36:37], v[164:165]
	v_mul_f64_e32 v[158:159], s[36:37], v[166:167]
	s_delay_alu instid0(VALU_DEP_4) | instskip(NEXT) | instid1(VALU_DEP_4)
	v_add_f64_e32 v[10:11], v[14:15], v[10:11]
	v_add_f64_e32 v[8:9], v[12:13], v[8:9]
	v_add_f64_e32 v[12:13], v[110:111], v[2:3]
	v_add_f64_e32 v[14:15], v[108:109], v[0:1]
	s_delay_alu instid0(VALU_DEP_4) | instskip(NEXT) | instid1(VALU_DEP_4)
	v_add_f64_e32 v[6:7], v[10:11], v[6:7]
	v_add_f64_e32 v[4:5], v[8:9], v[4:5]
	v_add_f64_e64 v[8:9], v[108:109], -v[0:1]
	v_add_f64_e64 v[10:11], v[110:111], -v[2:3]
	v_mul_f64_e32 v[108:109], s[36:37], v[176:177]
	v_mul_f64_e32 v[110:111], s[36:37], v[178:179]
	s_mov_b32 s37, 0xbfddbe06
	v_add_f64_e32 v[2:3], v[6:7], v[2:3]
	v_add_f64_e32 v[0:1], v[4:5], v[0:1]
	v_mul_f64_e32 v[4:5], s[0:1], v[8:9]
	v_mul_f64_e32 v[6:7], s[2:3], v[8:9]
	;; [unrolled: 1-line block ×3, first 2 shown]
	s_wait_alu 0xfffe
	v_mul_f64_e32 v[118:119], s[24:25], v[8:9]
	v_mul_f64_e32 v[184:185], s[26:27], v[8:9]
	;; [unrolled: 1-line block ×7, first 2 shown]
	scratch_store_b128 off, v[0:3], off offset:8 ; 16-byte Folded Spill
	v_fma_f64 v[186:187], v[12:13], s[14:15], v[4:5]
	v_fma_f64 v[4:5], v[12:13], s[14:15], -v[4:5]
	v_fma_f64 v[188:189], v[12:13], s[16:17], v[6:7]
	v_fma_f64 v[6:7], v[12:13], s[16:17], -v[6:7]
	;; [unrolled: 2-line block ×6, first 2 shown]
	v_mul_f64_e32 v[12:13], s[0:1], v[10:11]
	v_mul_f64_e32 v[10:11], s[36:37], v[10:11]
	v_fma_f64 v[208:209], v[14:15], s[16:17], -v[198:199]
	v_fma_f64 v[198:199], v[14:15], s[16:17], v[198:199]
	v_fma_f64 v[210:211], v[14:15], s[18:19], -v[200:201]
	v_fma_f64 v[200:201], v[14:15], s[18:19], v[200:201]
	v_fma_f64 v[212:213], v[14:15], s[20:21], -v[202:203]
	v_fma_f64 v[202:203], v[14:15], s[20:21], v[202:203]
	v_fma_f64 v[214:215], v[14:15], s[22:23], -v[204:205]
	v_fma_f64 v[204:205], v[14:15], s[22:23], v[204:205]
	s_mov_b32 s37, 0x3fcea1e5
	s_mov_b32 s36, s0
	v_dual_mov_b32 v2, v146 :: v_dual_mov_b32 v3, v147
	v_dual_mov_b32 v146, v142 :: v_dual_mov_b32 v147, v143
	v_mul_f64_e32 v[142:143], s[2:3], v[134:135]
	v_add_f64_e32 v[188:189], v[106:107], v[188:189]
	v_add_f64_e32 v[218:219], v[106:107], v[6:7]
	v_fma_f64 v[6:7], v[182:183], s[28:29], -v[110:111]
	v_add_f64_e32 v[21:22], v[106:107], v[116:117]
	v_fma_f64 v[110:111], v[182:183], s[28:29], v[110:111]
	v_add_f64_e32 v[116:117], v[106:107], v[118:119]
	v_add_f64_e32 v[190:191], v[106:107], v[190:191]
	;; [unrolled: 1-line block ×5, first 2 shown]
	v_fma_f64 v[206:207], v[14:15], s[14:15], -v[12:13]
	v_fma_f64 v[216:217], v[14:15], s[28:29], -v[10:11]
	v_fma_f64 v[12:13], v[14:15], s[14:15], v[12:13]
	v_fma_f64 v[10:11], v[14:15], s[28:29], v[10:11]
	v_add_f64_e32 v[14:15], v[106:107], v[186:187]
	v_mul_f64_e32 v[8:9], s[2:3], v[168:169]
	v_add_f64_e32 v[208:209], v[104:105], v[208:209]
	v_add_f64_e32 v[198:199], v[104:105], v[198:199]
	;; [unrolled: 1-line block ×10, first 2 shown]
	scratch_store_b64 off, v[0:1], off offset:32 ; 8-byte Folded Spill
	v_add_f64_e32 v[186:187], v[104:105], v[206:207]
	v_add_f64_e32 v[206:207], v[106:107], v[4:5]
	;; [unrolled: 1-line block ×3, first 2 shown]
	v_fma_f64 v[4:5], v[180:181], s[28:29], v[108:109]
	v_add_f64_e32 v[12:13], v[104:105], v[12:13]
	v_fma_f64 v[108:109], v[180:181], s[28:29], -v[108:109]
	v_dual_mov_b32 v217, v154 :: v_dual_mov_b32 v214, v151
	v_dual_mov_b32 v216, v153 :: v_dual_mov_b32 v215, v152
	;; [unrolled: 1-line block ×5, first 2 shown]
	v_mul_f64_e32 v[252:253], s[2:3], v[139:140]
	v_add_f64_e32 v[6:7], v[6:7], v[186:187]
	scratch_store_b64 off, v[0:1], off offset:24 ; 8-byte Folded Spill
	v_add_f64_e32 v[0:1], v[104:105], v[10:11]
	v_add_f64_e32 v[4:5], v[4:5], v[14:15]
	v_fma_f64 v[10:11], v[170:171], s[16:17], v[8:9]
	v_add_f64_e32 v[108:109], v[108:109], v[206:207]
	v_add_f64_e32 v[12:13], v[110:111], v[12:13]
	v_fma_f64 v[8:9], v[170:171], s[16:17], -v[8:9]
	scratch_store_b64 off, v[0:1], off offset:40 ; 8-byte Folded Spill
	v_dual_mov_b32 v0, v241 :: v_dual_mov_b32 v241, v144
	v_add_f64_e32 v[4:5], v[10:11], v[4:5]
	v_mul_f64_e32 v[10:11], s[2:3], v[172:173]
	v_add_f64_e32 v[8:9], v[8:9], v[108:109]
	v_mul_f64_e32 v[108:109], s[26:27], v[168:169]
	v_dual_mov_b32 v144, v245 :: v_dual_mov_b32 v1, v145
	v_mov_b32_e32 v145, v246
	v_fma_f64 v[14:15], v[174:175], s[16:17], -v[10:11]
	v_fma_f64 v[10:11], v[174:175], s[16:17], v[10:11]
	v_fma_f64 v[110:111], v[170:171], s[22:23], v[108:109]
	v_fma_f64 v[108:109], v[170:171], s[22:23], -v[108:109]
	s_delay_alu instid0(VALU_DEP_4) | instskip(SKIP_2) | instid1(VALU_DEP_2)
	v_add_f64_e32 v[6:7], v[14:15], v[6:7]
	v_mul_f64_e32 v[14:15], s[34:35], v[164:165]
	v_add_f64_e32 v[10:11], v[10:11], v[12:13]
	v_fma_f64 v[104:105], v[16:17], s[22:23], v[14:15]
	v_fma_f64 v[12:13], v[16:17], s[22:23], -v[14:15]
	v_fma_f64 v[14:15], v[132:133], s[20:21], v[228:229]
	s_delay_alu instid0(VALU_DEP_3) | instskip(SKIP_1) | instid1(VALU_DEP_4)
	v_add_f64_e32 v[4:5], v[104:105], v[4:5]
	v_mul_f64_e32 v[104:105], s[34:35], v[166:167]
	v_add_f64_e32 v[8:9], v[12:13], v[8:9]
	s_delay_alu instid0(VALU_DEP_2) | instskip(SKIP_2) | instid1(VALU_DEP_3)
	v_fma_f64 v[106:107], v[18:19], s[22:23], -v[104:105]
	v_fma_f64 v[12:13], v[18:19], s[22:23], v[104:105]
	v_mul_f64_e32 v[104:105], s[30:31], v[176:177]
	v_add_f64_e32 v[6:7], v[106:107], v[6:7]
	v_mul_f64_e32 v[106:107], s[10:11], v[130:131]
	s_delay_alu instid0(VALU_DEP_4) | instskip(NEXT) | instid1(VALU_DEP_2)
	v_add_f64_e32 v[10:11], v[12:13], v[10:11]
	v_fma_f64 v[186:187], v[128:129], s[18:19], v[106:107]
	v_fma_f64 v[12:13], v[128:129], s[18:19], -v[106:107]
	v_mul_f64_e32 v[106:107], s[30:31], v[178:179]
	s_delay_alu instid0(VALU_DEP_3) | instskip(SKIP_1) | instid1(VALU_DEP_4)
	v_add_f64_e32 v[4:5], v[186:187], v[4:5]
	v_mul_f64_e32 v[186:187], s[10:11], v[126:127]
	v_add_f64_e32 v[8:9], v[12:13], v[8:9]
	s_delay_alu instid0(VALU_DEP_2) | instskip(SKIP_1) | instid1(VALU_DEP_2)
	v_fma_f64 v[12:13], v[124:125], s[18:19], v[186:187]
	v_fma_f64 v[224:225], v[124:125], s[18:19], -v[186:187]
	v_add_f64_e32 v[12:13], v[12:13], v[10:11]
	v_fma_f64 v[10:11], v[137:138], s[20:21], -v[226:227]
	s_delay_alu instid0(VALU_DEP_3) | instskip(SKIP_1) | instid1(VALU_DEP_3)
	v_add_f64_e32 v[224:225], v[224:225], v[6:7]
	v_fma_f64 v[6:7], v[137:138], s[20:21], v[226:227]
	v_add_f64_e32 v[10:11], v[10:11], v[8:9]
	v_add_f64_e32 v[8:9], v[14:15], v[12:13]
	v_fma_f64 v[12:13], v[180:181], s[20:21], v[104:105]
	v_fma_f64 v[14:15], v[182:183], s[20:21], -v[106:107]
	v_fma_f64 v[104:105], v[180:181], s[20:21], -v[104:105]
	v_fma_f64 v[106:107], v[182:183], s[20:21], v[106:107]
	v_add_f64_e32 v[6:7], v[6:7], v[4:5]
	v_fma_f64 v[4:5], v[132:133], s[20:21], -v[228:229]
	v_add_f64_e32 v[12:13], v[12:13], v[188:189]
	v_add_f64_e32 v[14:15], v[14:15], v[208:209]
	;; [unrolled: 1-line block ×4, first 2 shown]
	v_mul_f64_e32 v[208:209], s[10:11], v[139:140]
	v_add_f64_e32 v[4:5], v[4:5], v[224:225]
	v_mul_f64_e32 v[224:225], s[10:11], v[134:135]
	v_mul_f64_e32 v[198:199], s[24:25], v[166:167]
	;; [unrolled: 1-line block ×4, first 2 shown]
	v_add_f64_e32 v[12:13], v[110:111], v[12:13]
	v_mul_f64_e32 v[110:111], s[26:27], v[172:173]
	v_add_f64_e32 v[104:105], v[108:109], v[104:105]
	s_delay_alu instid0(VALU_DEP_2) | instskip(SKIP_2) | instid1(VALU_DEP_3)
	v_fma_f64 v[186:187], v[174:175], s[22:23], -v[110:111]
	v_fma_f64 v[108:109], v[174:175], s[22:23], v[110:111]
	v_fma_f64 v[110:111], v[132:133], s[18:19], v[224:225]
	v_add_f64_e32 v[14:15], v[186:187], v[14:15]
	s_wait_alu 0xfffe
	v_mul_f64_e32 v[186:187], s[36:37], v[164:165]
	s_delay_alu instid0(VALU_DEP_4) | instskip(NEXT) | instid1(VALU_DEP_2)
	v_add_f64_e32 v[106:107], v[108:109], v[106:107]
	v_fma_f64 v[188:189], v[16:17], s[14:15], v[186:187]
	v_fma_f64 v[108:109], v[16:17], s[14:15], -v[186:187]
	v_mul_f64_e32 v[186:187], s[38:39], v[176:177]
	s_delay_alu instid0(VALU_DEP_3) | instskip(SKIP_1) | instid1(VALU_DEP_4)
	v_add_f64_e32 v[12:13], v[188:189], v[12:13]
	v_mul_f64_e32 v[188:189], s[36:37], v[166:167]
	v_add_f64_e32 v[104:105], v[108:109], v[104:105]
	s_delay_alu instid0(VALU_DEP_2) | instskip(SKIP_2) | instid1(VALU_DEP_3)
	v_fma_f64 v[108:109], v[18:19], s[14:15], v[188:189]
	v_fma_f64 v[206:207], v[18:19], s[14:15], -v[188:189]
	v_mul_f64_e32 v[188:189], s[38:39], v[178:179]
	v_add_f64_e32 v[106:107], v[108:109], v[106:107]
	v_fma_f64 v[108:109], v[128:129], s[28:29], -v[112:113]
	s_delay_alu instid0(VALU_DEP_4)
	v_add_f64_e32 v[14:15], v[206:207], v[14:15]
	v_fma_f64 v[206:207], v[128:129], s[28:29], v[112:113]
	v_fma_f64 v[112:113], v[170:171], s[28:29], v[120:121]
	v_fma_f64 v[120:121], v[170:171], s[28:29], -v[120:121]
	v_add_f64_e32 v[104:105], v[108:109], v[104:105]
	v_fma_f64 v[108:109], v[124:125], s[28:29], v[114:115]
	v_add_f64_e32 v[12:13], v[206:207], v[12:13]
	v_fma_f64 v[206:207], v[124:125], s[28:29], -v[114:115]
	s_delay_alu instid0(VALU_DEP_3) | instskip(SKIP_1) | instid1(VALU_DEP_3)
	v_add_f64_e32 v[108:109], v[108:109], v[106:107]
	v_fma_f64 v[106:107], v[137:138], s[18:19], -v[208:209]
	v_add_f64_e32 v[206:207], v[206:207], v[14:15]
	v_fma_f64 v[14:15], v[137:138], s[18:19], v[208:209]
	v_mul_f64_e32 v[208:209], s[36:37], v[126:127]
	s_delay_alu instid0(VALU_DEP_4)
	v_add_f64_e32 v[106:107], v[106:107], v[104:105]
	v_add_f64_e32 v[104:105], v[110:111], v[108:109]
	v_fma_f64 v[108:109], v[180:181], s[16:17], v[186:187]
	v_fma_f64 v[110:111], v[182:183], s[16:17], -v[188:189]
	v_add_f64_e32 v[14:15], v[14:15], v[12:13]
	v_fma_f64 v[12:13], v[132:133], s[18:19], -v[224:225]
	v_mul_f64_e32 v[224:225], s[10:11], v[176:177]
	v_fma_f64 v[186:187], v[180:181], s[16:17], -v[186:187]
	v_fma_f64 v[188:189], v[182:183], s[16:17], v[188:189]
	v_add_f64_e32 v[108:109], v[108:109], v[190:191]
	v_add_f64_e32 v[110:111], v[110:111], v[210:211]
	v_mul_f64_e32 v[190:191], s[24:25], v[164:165]
	v_add_f64_e32 v[12:13], v[12:13], v[206:207]
	v_mul_f64_e32 v[206:207], s[36:37], v[130:131]
	v_mul_f64_e32 v[210:211], s[34:35], v[139:140]
	v_add_f64_e32 v[186:187], v[186:187], v[21:22]
	v_add_f64_e32 v[188:189], v[188:189], v[200:201]
	v_mul_f64_e32 v[139:140], s[0:1], v[139:140]
	v_add_f64_e32 v[108:109], v[112:113], v[108:109]
	v_fma_f64 v[112:113], v[174:175], s[28:29], -v[122:123]
	v_fma_f64 v[122:123], v[174:175], s[28:29], v[122:123]
	v_add_f64_e32 v[120:121], v[120:121], v[186:187]
	v_fma_f64 v[186:187], v[16:17], s[20:21], -v[190:191]
	s_delay_alu instid0(VALU_DEP_4)
	v_add_f64_e32 v[110:111], v[112:113], v[110:111]
	v_fma_f64 v[112:113], v[16:17], s[20:21], v[190:191]
	v_add_f64_e32 v[122:123], v[122:123], v[188:189]
	v_fma_f64 v[188:189], v[132:133], s[22:23], v[218:219]
	;; [unrolled: 2-line block ×3, first 2 shown]
	v_add_f64_e32 v[108:109], v[112:113], v[108:109]
	v_fma_f64 v[112:113], v[18:19], s[20:21], -v[198:199]
	s_delay_alu instid0(VALU_DEP_3) | instskip(SKIP_1) | instid1(VALU_DEP_3)
	v_add_f64_e32 v[122:123], v[186:187], v[122:123]
	v_fma_f64 v[186:187], v[128:129], s[14:15], -v[206:207]
	v_add_f64_e32 v[110:111], v[112:113], v[110:111]
	v_fma_f64 v[112:113], v[128:129], s[14:15], v[206:207]
	s_delay_alu instid0(VALU_DEP_3) | instskip(SKIP_1) | instid1(VALU_DEP_3)
	v_add_f64_e32 v[120:121], v[186:187], v[120:121]
	v_fma_f64 v[186:187], v[124:125], s[14:15], v[208:209]
	v_add_f64_e32 v[108:109], v[112:113], v[108:109]
	v_fma_f64 v[112:113], v[124:125], s[14:15], -v[208:209]
	scratch_load_b32 v208, off, off offset:4 ; 4-byte Folded Reload
	v_add_f64_e32 v[186:187], v[186:187], v[122:123]
	v_fma_f64 v[122:123], v[137:138], s[22:23], -v[210:211]
	v_add_f64_e32 v[112:113], v[112:113], v[110:111]
	v_fma_f64 v[110:111], v[137:138], s[22:23], v[210:211]
	s_delay_alu instid0(VALU_DEP_3) | instskip(SKIP_1) | instid1(VALU_DEP_3)
	v_add_f64_e32 v[122:123], v[122:123], v[120:121]
	v_add_f64_e32 v[120:121], v[188:189], v[186:187]
	v_add_f64_e32 v[110:111], v[110:111], v[108:109]
	v_fma_f64 v[108:109], v[132:133], s[22:23], -v[218:219]
	s_delay_alu instid0(VALU_DEP_1) | instskip(SKIP_1) | instid1(VALU_DEP_1)
	v_add_f64_e32 v[108:109], v[108:109], v[112:113]
	v_fma_f64 v[112:113], v[180:181], s[18:19], -v[224:225]
	v_add_f64_e32 v[112:113], v[112:113], v[184:185]
	v_mul_f64_e32 v[184:185], s[10:11], v[178:179]
	s_delay_alu instid0(VALU_DEP_1) | instskip(SKIP_1) | instid1(VALU_DEP_2)
	v_fma_f64 v[114:115], v[182:183], s[18:19], v[184:185]
	v_fma_f64 v[184:185], v[182:183], s[18:19], -v[184:185]
	v_add_f64_e32 v[114:115], v[114:115], v[204:205]
	v_mul_f64_e32 v[204:205], s[0:1], v[168:169]
	s_delay_alu instid0(VALU_DEP_3) | instskip(NEXT) | instid1(VALU_DEP_2)
	v_add_f64_e32 v[184:185], v[184:185], v[202:203]
	v_fma_f64 v[226:227], v[170:171], s[14:15], -v[204:205]
	s_delay_alu instid0(VALU_DEP_1) | instskip(SKIP_1) | instid1(VALU_DEP_1)
	v_add_f64_e32 v[112:113], v[226:227], v[112:113]
	v_mul_f64_e32 v[226:227], s[0:1], v[172:173]
	v_fma_f64 v[228:229], v[174:175], s[14:15], v[226:227]
	s_delay_alu instid0(VALU_DEP_1) | instskip(SKIP_1) | instid1(VALU_DEP_1)
	v_add_f64_e32 v[114:115], v[228:229], v[114:115]
	v_mul_f64_e32 v[228:229], s[38:39], v[164:165]
	v_fma_f64 v[230:231], v[16:17], s[16:17], -v[228:229]
	s_delay_alu instid0(VALU_DEP_1) | instskip(SKIP_1) | instid1(VALU_DEP_1)
	v_add_f64_e32 v[112:113], v[230:231], v[112:113]
	v_mul_f64_e32 v[230:231], s[38:39], v[166:167]
	v_fma_f64 v[232:233], v[18:19], s[16:17], v[230:231]
	s_delay_alu instid0(VALU_DEP_1) | instskip(SKIP_1) | instid1(VALU_DEP_1)
	v_add_f64_e32 v[114:115], v[232:233], v[114:115]
	v_mul_f64_e32 v[232:233], s[30:31], v[130:131]
	v_fma_f64 v[234:235], v[128:129], s[20:21], -v[232:233]
	s_delay_alu instid0(VALU_DEP_1) | instskip(SKIP_3) | instid1(VALU_DEP_1)
	v_add_f64_e32 v[112:113], v[234:235], v[112:113]
	v_mul_f64_e32 v[234:235], s[30:31], v[126:127]
	s_mov_b32 s31, 0x3fedeba7
	s_mov_b32 s30, s10
	v_fma_f64 v[236:237], v[124:125], s[20:21], v[234:235]
	s_delay_alu instid0(VALU_DEP_1) | instskip(SKIP_2) | instid1(VALU_DEP_2)
	v_add_f64_e32 v[236:237], v[236:237], v[114:115]
	v_fma_f64 v[114:115], v[137:138], s[28:29], -v[160:161]
	v_fma_f64 v[160:161], v[137:138], s[28:29], v[160:161]
	v_add_f64_e32 v[114:115], v[114:115], v[112:113]
	v_fma_f64 v[112:113], v[132:133], s[28:29], v[162:163]
	s_delay_alu instid0(VALU_DEP_1) | instskip(SKIP_1) | instid1(VALU_DEP_1)
	v_add_f64_e32 v[112:113], v[112:113], v[236:237]
	v_mul_f64_e32 v[236:237], s[0:1], v[176:177]
	v_fma_f64 v[238:239], v[180:181], s[14:15], -v[236:237]
	v_fma_f64 v[186:187], v[180:181], s[14:15], v[236:237]
	s_delay_alu instid0(VALU_DEP_2) | instskip(SKIP_1) | instid1(VALU_DEP_3)
	v_add_f64_e32 v[116:117], v[238:239], v[116:117]
	v_mul_f64_e32 v[238:239], s[0:1], v[178:179]
	v_add_f64_e32 v[186:187], v[186:187], v[192:193]
	v_mul_f64_e32 v[178:179], s[26:27], v[178:179]
	s_delay_alu instid0(VALU_DEP_3) | instskip(SKIP_1) | instid1(VALU_DEP_2)
	v_fma_f64 v[242:243], v[182:183], s[14:15], v[238:239]
	v_fma_f64 v[188:189], v[182:183], s[14:15], -v[238:239]
	v_add_f64_e32 v[118:119], v[242:243], v[118:119]
	s_wait_alu 0xfffe
	v_mul_f64_e32 v[242:243], s[30:31], v[168:169]
	s_delay_alu instid0(VALU_DEP_3) | instskip(SKIP_1) | instid1(VALU_DEP_3)
	v_add_f64_e32 v[188:189], v[188:189], v[212:213]
	v_mul_f64_e32 v[168:169], s[24:25], v[168:169]
	v_fma_f64 v[244:245], v[170:171], s[18:19], -v[242:243]
	v_fma_f64 v[190:191], v[170:171], s[18:19], v[242:243]
	s_delay_alu instid0(VALU_DEP_2) | instskip(SKIP_1) | instid1(VALU_DEP_3)
	v_add_f64_e32 v[116:117], v[244:245], v[116:117]
	v_mul_f64_e32 v[244:245], s[30:31], v[172:173]
	v_add_f64_e32 v[186:187], v[190:191], v[186:187]
	v_mul_f64_e32 v[172:173], s[24:25], v[172:173]
	s_delay_alu instid0(VALU_DEP_3)
	v_fma_f64 v[246:247], v[174:175], s[18:19], v[244:245]
	v_fma_f64 v[190:191], v[174:175], s[18:19], -v[244:245]
	v_dual_mov_b32 v245, v144 :: v_dual_mov_b32 v144, v241
	v_dual_mov_b32 v241, v0 :: v_dual_mov_b32 v244, v136
	;; [unrolled: 1-line block ×3, first 2 shown]
	v_add_f64_e32 v[118:119], v[246:247], v[118:119]
	v_fma_f64 v[246:247], v[16:17], s[28:29], -v[156:157]
	v_fma_f64 v[156:157], v[16:17], s[28:29], v[156:157]
	v_add_f64_e32 v[188:189], v[190:191], v[188:189]
	s_delay_alu instid0(VALU_DEP_3) | instskip(SKIP_1) | instid1(VALU_DEP_4)
	v_add_f64_e32 v[116:117], v[246:247], v[116:117]
	v_fma_f64 v[246:247], v[18:19], s[28:29], v[158:159]
	v_add_f64_e32 v[156:157], v[156:157], v[186:187]
	v_fma_f64 v[158:159], v[18:19], s[28:29], -v[158:159]
	s_delay_alu instid0(VALU_DEP_3) | instskip(SKIP_1) | instid1(VALU_DEP_3)
	v_add_f64_e32 v[118:119], v[246:247], v[118:119]
	v_mul_f64_e32 v[246:247], s[26:27], v[130:131]
	v_add_f64_e32 v[158:159], v[158:159], v[188:189]
	v_mul_f64_e32 v[130:131], s[2:3], v[130:131]
	s_delay_alu instid0(VALU_DEP_3)
	v_fma_f64 v[248:249], v[128:129], s[22:23], -v[246:247]
	v_fma_f64 v[186:187], v[128:129], s[22:23], v[246:247]
	v_dual_mov_b32 v247, v240 :: v_dual_mov_b32 v246, v145
	v_mov_b32_e32 v145, v1
	scratch_load_b64 v[0:1], off, off offset:40 th:TH_LOAD_LU ; 8-byte Folded Reload
	v_add_f64_e32 v[116:117], v[248:249], v[116:117]
	v_mul_f64_e32 v[248:249], s[26:27], v[126:127]
	v_add_f64_e32 v[156:157], v[186:187], v[156:157]
	v_mul_f64_e32 v[126:127], s[2:3], v[126:127]
	s_delay_alu instid0(VALU_DEP_3)
	v_fma_f64 v[250:251], v[124:125], s[22:23], v[248:249]
	v_fma_f64 v[186:187], v[124:125], s[22:23], -v[248:249]
	v_mov_b32_e32 v249, v149
	v_dual_mov_b32 v149, v23 :: v_dual_mov_b32 v248, v148
	v_mov_b32_e32 v148, v20
	v_add_f64_e32 v[250:251], v[250:251], v[118:119]
	v_fma_f64 v[118:119], v[137:138], s[16:17], -v[252:253]
	v_add_f64_e32 v[186:187], v[186:187], v[158:159]
	v_fma_f64 v[158:159], v[137:138], s[16:17], v[252:253]
	v_dual_mov_b32 v252, v152 :: v_dual_mov_b32 v253, v153
	s_delay_alu instid0(VALU_DEP_4) | instskip(SKIP_3) | instid1(VALU_DEP_3)
	v_add_f64_e32 v[118:119], v[118:119], v[116:117]
	v_fma_f64 v[116:117], v[132:133], s[16:17], v[142:143]
	v_fma_f64 v[142:143], v[132:133], s[16:17], -v[142:143]
	v_add_f64_e32 v[158:159], v[158:159], v[156:157]
	v_add_f64_e32 v[116:117], v[116:117], v[250:251]
	s_delay_alu instid0(VALU_DEP_3)
	v_add_f64_e32 v[156:157], v[142:143], v[186:187]
	v_fma_f64 v[142:143], v[180:181], s[18:19], v[224:225]
	v_fma_f64 v[186:187], v[170:171], s[14:15], v[204:205]
	v_dual_mov_b32 v251, v151 :: v_dual_mov_b32 v250, v150
	v_dual_mov_b32 v151, v214 :: v_dual_mov_b32 v154, v217
	;; [unrolled: 1-line block ×3, first 2 shown]
	v_add_f64_e32 v[142:143], v[142:143], v[194:195]
	s_delay_alu instid0(VALU_DEP_1) | instskip(SKIP_1) | instid1(VALU_DEP_1)
	v_add_f64_e32 v[142:143], v[186:187], v[142:143]
	v_fma_f64 v[186:187], v[174:175], s[14:15], -v[226:227]
	v_add_f64_e32 v[184:185], v[186:187], v[184:185]
	v_fma_f64 v[186:187], v[16:17], s[16:17], v[228:229]
	s_delay_alu instid0(VALU_DEP_1) | instskip(SKIP_1) | instid1(VALU_DEP_1)
	v_add_f64_e32 v[142:143], v[186:187], v[142:143]
	v_fma_f64 v[186:187], v[18:19], s[16:17], -v[230:231]
	v_add_f64_e32 v[184:185], v[186:187], v[184:185]
	v_fma_f64 v[186:187], v[128:129], s[20:21], v[232:233]
	s_delay_alu instid0(VALU_DEP_1) | instskip(SKIP_1) | instid1(VALU_DEP_1)
	v_add_f64_e32 v[142:143], v[186:187], v[142:143]
	v_fma_f64 v[186:187], v[124:125], s[20:21], -v[234:235]
	v_add_f64_e32 v[184:185], v[186:187], v[184:185]
	v_fma_f64 v[186:187], v[132:133], s[28:29], -v[162:163]
	s_delay_alu instid0(VALU_DEP_4) | instskip(SKIP_1) | instid1(VALU_DEP_3)
	v_add_f64_e32 v[162:163], v[160:161], v[142:143]
	v_mul_f64_e32 v[142:143], s[26:27], v[176:177]
	v_add_f64_e32 v[160:161], v[186:187], v[184:185]
	v_fma_f64 v[184:185], v[182:183], s[22:23], v[178:179]
	s_delay_alu instid0(VALU_DEP_3)
	v_fma_f64 v[176:177], v[180:181], s[22:23], -v[142:143]
	v_fma_f64 v[142:143], v[180:181], s[22:23], v[142:143]
	v_fma_f64 v[186:187], v[170:171], s[20:21], -v[168:169]
	v_fma_f64 v[178:179], v[182:183], s[22:23], -v[178:179]
	v_fma_f64 v[168:169], v[170:171], s[20:21], v[168:169]
	v_fma_f64 v[170:171], v[174:175], s[20:21], -v[172:173]
	s_wait_loadcnt 0x0
	v_add_f64_e32 v[184:185], v[184:185], v[0:1]
	scratch_load_b64 v[0:1], off, off offset:32 th:TH_LOAD_LU ; 8-byte Folded Reload
	v_add_f64_e32 v[176:177], v[176:177], v[196:197]
	s_delay_alu instid0(VALU_DEP_1) | instskip(SKIP_1) | instid1(VALU_DEP_1)
	v_add_f64_e32 v[176:177], v[186:187], v[176:177]
	v_fma_f64 v[186:187], v[174:175], s[20:21], v[172:173]
	v_add_f64_e32 v[184:185], v[186:187], v[184:185]
	v_mul_f64_e32 v[186:187], s[10:11], v[164:165]
	s_delay_alu instid0(VALU_DEP_1) | instskip(SKIP_1) | instid1(VALU_DEP_2)
	v_fma_f64 v[164:165], v[16:17], s[18:19], -v[186:187]
	v_fma_f64 v[16:17], v[16:17], s[18:19], v[186:187]
	v_add_f64_e32 v[164:165], v[164:165], v[176:177]
	v_mul_f64_e32 v[176:177], s[10:11], v[166:167]
	s_delay_alu instid0(VALU_DEP_1) | instskip(SKIP_1) | instid1(VALU_DEP_2)
	v_fma_f64 v[166:167], v[18:19], s[18:19], v[176:177]
	v_fma_f64 v[18:19], v[18:19], s[18:19], -v[176:177]
	v_add_f64_e32 v[166:167], v[166:167], v[184:185]
	v_fma_f64 v[184:185], v[128:129], s[16:17], -v[130:131]
	v_fma_f64 v[128:129], v[128:129], s[16:17], v[130:131]
	s_delay_alu instid0(VALU_DEP_2) | instskip(SKIP_3) | instid1(VALU_DEP_3)
	v_add_f64_e32 v[164:165], v[184:185], v[164:165]
	v_fma_f64 v[184:185], v[124:125], s[16:17], v[126:127]
	v_fma_f64 v[124:125], v[124:125], s[16:17], -v[126:127]
	v_fma_f64 v[126:127], v[137:138], s[14:15], v[139:140]
	v_add_f64_e32 v[184:185], v[184:185], v[166:167]
	v_fma_f64 v[166:167], v[137:138], s[14:15], -v[139:140]
	s_wait_loadcnt 0x0
	v_add_f64_e32 v[142:143], v[142:143], v[0:1]
	s_clause 0x1
	scratch_load_b64 v[0:1], off, off offset:24 th:TH_LOAD_LU
	scratch_load_b32 v210, off, off
	v_add_f64_e32 v[166:167], v[166:167], v[164:165]
	v_fma_f64 v[164:165], v[132:133], s[14:15], v[134:135]
	v_add_f64_e32 v[142:143], v[168:169], v[142:143]
	s_delay_alu instid0(VALU_DEP_2) | instskip(NEXT) | instid1(VALU_DEP_2)
	v_add_f64_e32 v[164:165], v[164:165], v[184:185]
	v_add_f64_e32 v[16:17], v[16:17], v[142:143]
	v_dual_mov_b32 v142, v146 :: v_dual_mov_b32 v143, v147
	v_dual_mov_b32 v146, v2 :: v_dual_mov_b32 v147, v3
	s_delay_alu instid0(VALU_DEP_3) | instskip(SKIP_3) | instid1(VALU_DEP_1)
	v_add_f64_e32 v[16:17], v[128:129], v[16:17]
	v_fma_f64 v[128:129], v[132:133], s[14:15], -v[134:135]
	s_wait_loadcnt 0x1
	v_add_f64_e32 v[172:173], v[178:179], v[0:1]
	v_add_f64_e32 v[168:169], v[170:171], v[172:173]
	s_delay_alu instid0(VALU_DEP_1) | instskip(NEXT) | instid1(VALU_DEP_1)
	v_add_f64_e32 v[18:19], v[18:19], v[168:169]
	v_add_f64_e32 v[124:125], v[124:125], v[18:19]
	;; [unrolled: 1-line block ×3, first 2 shown]
	s_delay_alu instid0(VALU_DEP_2) | instskip(SKIP_1) | instid1(VALU_DEP_1)
	v_add_f64_e32 v[16:17], v[128:129], v[124:125]
	v_and_b32_e32 v124, 0xffff, v155
	v_lshlrev_b32_e32 v124, 4, v124
	ds_store_b128 v124, v[112:115] offset:32
	ds_store_b128 v124, v[116:119] offset:48
	;; [unrolled: 1-line block ×11, first 2 shown]
	scratch_load_b128 v[0:3], off, off offset:8 th:TH_LOAD_LU ; 16-byte Folded Reload
	s_wait_loadcnt 0x0
	ds_store_b128 v124, v[0:3]
	ds_store_b128 v124, v[16:19] offset:192
.LBB0_13:
	s_or_b32 exec_lo, exec_lo, s33
	global_wb scope:SCOPE_SE
	s_wait_storecnt_dscnt 0x0
	s_barrier_signal -1
	s_barrier_wait -1
	global_inv scope:SCOPE_SE
	ds_load_b128 v[0:3], v141 offset:6656
	ds_load_b128 v[4:7], v141 offset:8320
	ds_load_b128 v[8:11], v141 offset:9984
	ds_load_b128 v[12:15], v141 offset:11648
	s_wait_dscnt 0x3
	v_mul_f64_e32 v[16:17], v[30:31], v[2:3]
	v_mul_f64_e32 v[18:19], v[30:31], v[0:1]
	s_wait_dscnt 0x2
	v_mul_f64_e32 v[30:31], v[34:35], v[6:7]
	v_mul_f64_e32 v[34:35], v[34:35], v[4:5]
	s_wait_dscnt 0x1
	v_mul_f64_e32 v[104:105], v[26:27], v[10:11]
	v_mul_f64_e32 v[26:27], v[26:27], v[8:9]
	s_wait_dscnt 0x0
	v_mul_f64_e32 v[106:107], v[153:154], v[14:15]
	v_mul_f64_e32 v[22:23], v[153:154], v[12:13]
	v_fma_f64 v[16:17], v[28:29], v[0:1], v[16:17]
	v_fma_f64 v[18:19], v[28:29], v[2:3], -v[18:19]
	v_fma_f64 v[28:29], v[32:33], v[4:5], v[30:31]
	v_fma_f64 v[30:31], v[32:33], v[6:7], -v[34:35]
	v_fma_f64 v[32:33], v[24:25], v[8:9], v[104:105]
	v_fma_f64 v[26:27], v[24:25], v[10:11], -v[26:27]
	v_fma_f64 v[34:35], v[151:152], v[12:13], v[106:107]
	v_fma_f64 v[104:105], v[151:152], v[14:15], -v[22:23]
	ds_load_b128 v[0:3], v141
	ds_load_b128 v[4:7], v141 offset:1664
	ds_load_b128 v[8:11], v141 offset:3328
	ds_load_b128 v[12:15], v141 offset:4992
	global_wb scope:SCOPE_SE
	s_wait_dscnt 0x0
	s_barrier_signal -1
	s_barrier_wait -1
	global_inv scope:SCOPE_SE
	v_add_f64_e64 v[16:17], v[0:1], -v[16:17]
	v_add_f64_e64 v[18:19], v[2:3], -v[18:19]
	v_add_f64_e64 v[20:21], v[4:5], -v[28:29]
	v_add_f64_e64 v[22:23], v[6:7], -v[30:31]
	v_add_f64_e64 v[24:25], v[8:9], -v[32:33]
	v_add_f64_e64 v[26:27], v[10:11], -v[26:27]
	v_add_f64_e64 v[28:29], v[12:13], -v[34:35]
	v_add_f64_e64 v[30:31], v[14:15], -v[104:105]
	v_fma_f64 v[0:1], v[0:1], 2.0, -v[16:17]
	v_fma_f64 v[2:3], v[2:3], 2.0, -v[18:19]
	v_fma_f64 v[4:5], v[4:5], 2.0, -v[20:21]
	v_fma_f64 v[6:7], v[6:7], 2.0, -v[22:23]
	v_fma_f64 v[8:9], v[8:9], 2.0, -v[24:25]
	v_fma_f64 v[10:11], v[10:11], 2.0, -v[26:27]
	v_fma_f64 v[12:13], v[12:13], 2.0, -v[28:29]
	v_fma_f64 v[14:15], v[14:15], 2.0, -v[30:31]
	ds_store_b128 v145, v[0:3]
	ds_store_b128 v145, v[16:19] offset:208
	ds_store_b128 v144, v[4:7]
	ds_store_b128 v144, v[20:23] offset:208
	ds_store_b128 v143, v[8:11]
	ds_store_b128 v143, v[24:27] offset:208
	ds_store_b128 v142, v[12:15]
	ds_store_b128 v142, v[28:31] offset:208
	global_wb scope:SCOPE_SE
	s_wait_dscnt 0x0
	s_barrier_signal -1
	s_barrier_wait -1
	global_inv scope:SCOPE_SE
	ds_load_b128 v[0:3], v141 offset:6656
	ds_load_b128 v[4:7], v141 offset:8320
	ds_load_b128 v[8:11], v141 offset:9984
	ds_load_b128 v[12:15], v141 offset:11648
	s_wait_dscnt 0x3
	v_mul_f64_e32 v[16:17], v[46:47], v[2:3]
	v_mul_f64_e32 v[18:19], v[46:47], v[0:1]
	s_wait_dscnt 0x2
	v_mul_f64_e32 v[20:21], v[50:51], v[6:7]
	v_mul_f64_e32 v[22:23], v[50:51], v[4:5]
	s_wait_dscnt 0x1
	v_mul_f64_e32 v[24:25], v[42:43], v[10:11]
	v_mul_f64_e32 v[26:27], v[42:43], v[8:9]
	s_wait_dscnt 0x0
	v_mul_f64_e32 v[28:29], v[38:39], v[14:15]
	v_mul_f64_e32 v[30:31], v[38:39], v[12:13]
	v_fma_f64 v[16:17], v[44:45], v[0:1], v[16:17]
	v_fma_f64 v[18:19], v[44:45], v[2:3], -v[18:19]
	v_fma_f64 v[20:21], v[48:49], v[4:5], v[20:21]
	v_fma_f64 v[22:23], v[48:49], v[6:7], -v[22:23]
	v_fma_f64 v[24:25], v[40:41], v[8:9], v[24:25]
	v_fma_f64 v[26:27], v[40:41], v[10:11], -v[26:27]
	v_fma_f64 v[28:29], v[36:37], v[12:13], v[28:29]
	v_fma_f64 v[30:31], v[36:37], v[14:15], -v[30:31]
	ds_load_b128 v[0:3], v141
	ds_load_b128 v[4:7], v141 offset:1664
	ds_load_b128 v[8:11], v141 offset:3328
	ds_load_b128 v[12:15], v141 offset:4992
	global_wb scope:SCOPE_SE
	s_wait_dscnt 0x0
	s_barrier_signal -1
	s_barrier_wait -1
	global_inv scope:SCOPE_SE
	v_add_f64_e64 v[16:17], v[0:1], -v[16:17]
	v_add_f64_e64 v[18:19], v[2:3], -v[18:19]
	v_add_f64_e64 v[20:21], v[4:5], -v[20:21]
	v_add_f64_e64 v[22:23], v[6:7], -v[22:23]
	v_add_f64_e64 v[24:25], v[8:9], -v[24:25]
	v_add_f64_e64 v[26:27], v[10:11], -v[26:27]
	v_add_f64_e64 v[28:29], v[12:13], -v[28:29]
	v_add_f64_e64 v[30:31], v[14:15], -v[30:31]
	v_fma_f64 v[0:1], v[0:1], 2.0, -v[16:17]
	v_fma_f64 v[2:3], v[2:3], 2.0, -v[18:19]
	v_fma_f64 v[4:5], v[4:5], 2.0, -v[20:21]
	v_fma_f64 v[6:7], v[6:7], 2.0, -v[22:23]
	v_fma_f64 v[8:9], v[8:9], 2.0, -v[24:25]
	v_fma_f64 v[10:11], v[10:11], 2.0, -v[26:27]
	v_fma_f64 v[12:13], v[12:13], 2.0, -v[28:29]
	v_fma_f64 v[14:15], v[14:15], 2.0, -v[30:31]
	ds_store_b128 v208, v[0:3]
	ds_store_b128 v208, v[16:19] offset:416
	ds_store_b128 v220, v[4:7]
	ds_store_b128 v220, v[20:23] offset:416
	ds_store_b128 v149, v[8:11]
	ds_store_b128 v149, v[24:27] offset:416
	ds_store_b128 v148, v[12:15]
	ds_store_b128 v148, v[28:31] offset:416
	global_wb scope:SCOPE_SE
	s_wait_dscnt 0x0
	;; [unrolled: 62-line block ×3, first 2 shown]
	s_barrier_signal -1
	s_barrier_wait -1
	global_inv scope:SCOPE_SE
	ds_load_b128 v[0:3], v141 offset:6656
	ds_load_b128 v[4:7], v141 offset:8320
	ds_load_b128 v[8:11], v141 offset:9984
	ds_load_b128 v[12:15], v141 offset:11648
	s_wait_dscnt 0x3
	v_mul_f64_e32 v[16:17], v[74:75], v[2:3]
	v_mul_f64_e32 v[18:19], v[74:75], v[0:1]
	s_wait_dscnt 0x2
	v_mul_f64_e32 v[20:21], v[74:75], v[6:7]
	v_mul_f64_e32 v[22:23], v[74:75], v[4:5]
	;; [unrolled: 3-line block ×4, first 2 shown]
	v_fma_f64 v[16:17], v[72:73], v[0:1], v[16:17]
	v_fma_f64 v[18:19], v[72:73], v[2:3], -v[18:19]
	v_fma_f64 v[20:21], v[72:73], v[4:5], v[20:21]
	v_fma_f64 v[22:23], v[72:73], v[6:7], -v[22:23]
	;; [unrolled: 2-line block ×4, first 2 shown]
	ds_load_b128 v[0:3], v141
	ds_load_b128 v[4:7], v141 offset:1664
	ds_load_b128 v[8:11], v141 offset:3328
	;; [unrolled: 1-line block ×3, first 2 shown]
	global_wb scope:SCOPE_SE
	s_wait_dscnt 0x0
	s_barrier_signal -1
	s_barrier_wait -1
	global_inv scope:SCOPE_SE
	v_add_f64_e64 v[16:17], v[0:1], -v[16:17]
	v_add_f64_e64 v[18:19], v[2:3], -v[18:19]
	;; [unrolled: 1-line block ×8, first 2 shown]
	v_fma_f64 v[0:1], v[0:1], 2.0, -v[16:17]
	v_fma_f64 v[2:3], v[2:3], 2.0, -v[18:19]
	;; [unrolled: 1-line block ×8, first 2 shown]
	ds_store_b128 v141, v[0:3]
	ds_store_b128 v141, v[16:19] offset:1664
	ds_store_b128 v141, v[4:7] offset:3328
	;; [unrolled: 1-line block ×7, first 2 shown]
	global_wb scope:SCOPE_SE
	s_wait_dscnt 0x0
	s_barrier_signal -1
	s_barrier_wait -1
	global_inv scope:SCOPE_SE
	ds_load_b128 v[0:3], v141 offset:6656
	ds_load_b128 v[4:7], v141 offset:8320
	;; [unrolled: 1-line block ×4, first 2 shown]
	s_wait_dscnt 0x3
	v_mul_f64_e32 v[16:17], v[82:83], v[2:3]
	v_mul_f64_e32 v[18:19], v[82:83], v[0:1]
	s_wait_dscnt 0x2
	v_mul_f64_e32 v[20:21], v[86:87], v[6:7]
	v_mul_f64_e32 v[22:23], v[86:87], v[4:5]
	;; [unrolled: 3-line block ×4, first 2 shown]
	v_fma_f64 v[16:17], v[80:81], v[0:1], v[16:17]
	v_fma_f64 v[18:19], v[80:81], v[2:3], -v[18:19]
	v_fma_f64 v[20:21], v[84:85], v[4:5], v[20:21]
	v_fma_f64 v[22:23], v[84:85], v[6:7], -v[22:23]
	;; [unrolled: 2-line block ×4, first 2 shown]
	ds_load_b128 v[0:3], v141
	ds_load_b128 v[4:7], v141 offset:1664
	ds_load_b128 v[8:11], v141 offset:3328
	;; [unrolled: 1-line block ×3, first 2 shown]
	global_wb scope:SCOPE_SE
	s_wait_dscnt 0x0
	s_barrier_signal -1
	s_barrier_wait -1
	global_inv scope:SCOPE_SE
	v_add_f64_e64 v[16:17], v[0:1], -v[16:17]
	v_add_f64_e64 v[18:19], v[2:3], -v[18:19]
	;; [unrolled: 1-line block ×8, first 2 shown]
	v_fma_f64 v[0:1], v[0:1], 2.0, -v[16:17]
	v_fma_f64 v[2:3], v[2:3], 2.0, -v[18:19]
	;; [unrolled: 1-line block ×8, first 2 shown]
	ds_store_b128 v141, v[16:19] offset:3328
	ds_store_b128 v141, v[20:23] offset:4992
	;; [unrolled: 1-line block ×4, first 2 shown]
	ds_store_b128 v141, v[0:3]
	ds_store_b128 v141, v[4:7] offset:1664
	ds_store_b128 v141, v[8:11] offset:6656
	;; [unrolled: 1-line block ×3, first 2 shown]
	global_wb scope:SCOPE_SE
	s_wait_dscnt 0x0
	s_barrier_signal -1
	s_barrier_wait -1
	global_inv scope:SCOPE_SE
	ds_load_b128 v[0:3], v141 offset:6656
	ds_load_b128 v[4:7], v141 offset:8320
	;; [unrolled: 1-line block ×4, first 2 shown]
	s_wait_dscnt 0x3
	v_mul_f64_e32 v[16:17], v[90:91], v[2:3]
	v_mul_f64_e32 v[18:19], v[90:91], v[0:1]
	s_wait_dscnt 0x2
	v_mul_f64_e32 v[20:21], v[94:95], v[6:7]
	v_mul_f64_e32 v[22:23], v[94:95], v[4:5]
	;; [unrolled: 3-line block ×4, first 2 shown]
	v_fma_f64 v[16:17], v[88:89], v[0:1], v[16:17]
	v_fma_f64 v[18:19], v[88:89], v[2:3], -v[18:19]
	v_fma_f64 v[20:21], v[92:93], v[4:5], v[20:21]
	v_fma_f64 v[22:23], v[92:93], v[6:7], -v[22:23]
	;; [unrolled: 2-line block ×4, first 2 shown]
	ds_load_b128 v[0:3], v141
	ds_load_b128 v[4:7], v141 offset:1664
	ds_load_b128 v[8:11], v141 offset:3328
	;; [unrolled: 1-line block ×3, first 2 shown]
	s_wait_dscnt 0x3
	v_add_f64_e64 v[16:17], v[0:1], -v[16:17]
	v_add_f64_e64 v[18:19], v[2:3], -v[18:19]
	s_wait_dscnt 0x2
	v_add_f64_e64 v[20:21], v[4:5], -v[20:21]
	v_add_f64_e64 v[22:23], v[6:7], -v[22:23]
	;; [unrolled: 3-line block ×4, first 2 shown]
	v_fma_f64 v[0:1], v[0:1], 2.0, -v[16:17]
	v_fma_f64 v[2:3], v[2:3], 2.0, -v[18:19]
	;; [unrolled: 1-line block ×8, first 2 shown]
	ds_store_b128 v141, v[16:19] offset:6656
	ds_store_b128 v141, v[20:23] offset:8320
	ds_store_b128 v141, v[24:27] offset:9984
	ds_store_b128 v141, v[28:31] offset:11648
	ds_store_b128 v141, v[0:3]
	ds_store_b128 v141, v[4:7] offset:1664
	ds_store_b128 v141, v[8:11] offset:3328
	;; [unrolled: 1-line block ×3, first 2 shown]
	global_wb scope:SCOPE_SE
	s_wait_dscnt 0x0
	s_barrier_signal -1
	s_barrier_wait -1
	global_inv scope:SCOPE_SE
	s_and_b32 exec_lo, exec_lo, vcc_lo
	s_cbranch_execz .LBB0_15
; %bb.14:
	s_clause 0xc
	global_load_b128 v[0:3], v254, s[12:13]
	global_load_b128 v[4:7], v254, s[12:13] offset:1024
	global_load_b128 v[8:11], v254, s[12:13] offset:2048
	;; [unrolled: 1-line block ×12, first 2 shown]
	v_mad_co_u64_u32 v[104:105], null, s6, v245, 0
	v_mad_co_u64_u32 v[106:107], null, s4, v241, 0
	;; [unrolled: 1-line block ×4, first 2 shown]
	ds_load_b128 v[52:55], v141
	ds_load_b128 v[56:59], v254 offset:1024
	v_mad_co_u64_u32 v[112:113], null, s4, v246, 0
	v_mad_co_u64_u32 v[132:133], null, s7, v245, v[105:106]
	;; [unrolled: 1-line block ×3, first 2 shown]
	ds_load_b128 v[60:63], v254 offset:2048
	ds_load_b128 v[64:67], v254 offset:3072
	v_mad_co_u64_u32 v[116:117], null, s4, v248, 0
	v_mad_co_u64_u32 v[118:119], null, s4, v249, 0
	ds_load_b128 v[68:71], v254 offset:4096
	ds_load_b128 v[72:75], v254 offset:5120
	v_mad_co_u64_u32 v[120:121], null, s4, v250, 0
	v_or_b32_e32 v146, 0x300, v241
	v_mad_co_u64_u32 v[122:123], null, s4, v251, 0
	ds_load_b128 v[76:79], v254 offset:6144
	ds_load_b128 v[80:83], v254 offset:7168
	v_mad_co_u64_u32 v[124:125], null, s4, v252, 0
	v_mad_co_u64_u32 v[133:134], null, s5, v241, v[107:108]
	v_mov_b32_e32 v105, v132
	v_mad_co_u64_u32 v[126:127], null, s4, v253, 0
	v_mad_co_u64_u32 v[134:135], null, s5, v244, v[109:110]
	ds_load_b128 v[84:87], v254 offset:8192
	ds_load_b128 v[88:91], v254 offset:9216
	v_mad_co_u64_u32 v[128:129], null, s4, v255, 0
	v_mad_co_u64_u32 v[135:136], null, s5, v136, v[111:112]
	;; [unrolled: 1-line block ×4, first 2 shown]
	ds_load_b128 v[92:95], v254 offset:10240
	ds_load_b128 v[96:99], v254 offset:11264
	v_mad_co_u64_u32 v[137:138], null, s5, v247, v[115:116]
	ds_load_b128 v[100:103], v254 offset:12288
	v_mad_co_u64_u32 v[138:139], null, s5, v248, v[117:118]
	v_lshlrev_b64_e32 v[104:105], 4, v[104:105]
	v_mad_co_u64_u32 v[139:140], null, s5, v249, v[119:120]
	v_mad_co_u64_u32 v[140:141], null, s5, v250, v[121:122]
	;; [unrolled: 1-line block ×6, first 2 shown]
	v_add_co_u32 v156, vcc_lo, s8, v104
	v_mad_co_u64_u32 v[145:146], null, s5, v146, v[131:132]
	v_add_co_ci_u32_e32 v157, vcc_lo, s9, v105, vcc_lo
	v_mov_b32_e32 v107, v133
	v_mov_b32_e32 v109, v134
	;; [unrolled: 1-line block ×13, first 2 shown]
	v_lshlrev_b64_e32 v[106:107], 4, v[106:107]
	s_mov_b32 s0, 0x13b13b14
	v_lshlrev_b64_e32 v[108:109], 4, v[108:109]
	s_mov_b32 s1, 0x3f53b13b
	v_lshlrev_b64_e32 v[110:111], 4, v[110:111]
	v_lshlrev_b64_e32 v[112:113], 4, v[112:113]
	v_add_co_u32 v106, vcc_lo, v156, v106
	s_wait_alu 0xfffd
	v_add_co_ci_u32_e32 v107, vcc_lo, v157, v107, vcc_lo
	v_add_co_u32 v108, vcc_lo, v156, v108
	s_wait_alu 0xfffd
	v_add_co_ci_u32_e32 v109, vcc_lo, v157, v109, vcc_lo
	v_lshlrev_b64_e32 v[114:115], 4, v[114:115]
	v_add_co_u32 v110, vcc_lo, v156, v110
	s_wait_alu 0xfffd
	v_add_co_ci_u32_e32 v111, vcc_lo, v157, v111, vcc_lo
	v_lshlrev_b64_e32 v[116:117], 4, v[116:117]
	v_lshlrev_b64_e32 v[118:119], 4, v[118:119]
	;; [unrolled: 1-line block ×8, first 2 shown]
	s_wait_loadcnt_dscnt 0xc0c
	v_mul_f64_e32 v[104:105], v[54:55], v[2:3]
	v_mul_f64_e32 v[2:3], v[52:53], v[2:3]
	s_wait_loadcnt_dscnt 0xb0b
	v_mul_f64_e32 v[132:133], v[58:59], v[6:7]
	v_mul_f64_e32 v[6:7], v[56:57], v[6:7]
	;; [unrolled: 3-line block ×13, first 2 shown]
	v_fma_f64 v[52:53], v[52:53], v[0:1], v[104:105]
	v_fma_f64 v[2:3], v[0:1], v[54:55], -v[2:3]
	v_fma_f64 v[54:55], v[56:57], v[4:5], v[132:133]
	v_fma_f64 v[6:7], v[4:5], v[58:59], -v[6:7]
	;; [unrolled: 2-line block ×13, first 2 shown]
	v_add_co_u32 v78, vcc_lo, v156, v112
	s_wait_alu 0xfffd
	v_add_co_ci_u32_e32 v79, vcc_lo, v157, v113, vcc_lo
	v_add_co_u32 v80, vcc_lo, v156, v114
	s_wait_alu 0xfffd
	v_add_co_ci_u32_e32 v81, vcc_lo, v157, v115, vcc_lo
	;; [unrolled: 3-line block ×3, first 2 shown]
	s_wait_alu 0xfffe
	v_mul_f64_e32 v[0:1], s[0:1], v[52:53]
	v_mul_f64_e32 v[2:3], s[0:1], v[2:3]
	;; [unrolled: 1-line block ×26, first 2 shown]
	v_add_co_u32 v52, vcc_lo, v156, v118
	s_wait_alu 0xfffd
	v_add_co_ci_u32_e32 v53, vcc_lo, v157, v119, vcc_lo
	v_add_co_u32 v54, vcc_lo, v156, v120
	s_wait_alu 0xfffd
	v_add_co_ci_u32_e32 v55, vcc_lo, v157, v121, vcc_lo
	;; [unrolled: 3-line block ×7, first 2 shown]
	s_clause 0xc
	global_store_b128 v[106:107], v[0:3], off
	global_store_b128 v[108:109], v[4:7], off
	;; [unrolled: 1-line block ×13, first 2 shown]
.LBB0_15:
	s_nop 0
	s_sendmsg sendmsg(MSG_DEALLOC_VGPRS)
	s_endpgm
	.section	.rodata,"a",@progbits
	.p2align	6, 0x0
	.amdhsa_kernel bluestein_single_fwd_len832_dim1_dp_op_CI_CI
		.amdhsa_group_segment_fixed_size 13312
		.amdhsa_private_segment_fixed_size 52
		.amdhsa_kernarg_size 104
		.amdhsa_user_sgpr_count 2
		.amdhsa_user_sgpr_dispatch_ptr 0
		.amdhsa_user_sgpr_queue_ptr 0
		.amdhsa_user_sgpr_kernarg_segment_ptr 1
		.amdhsa_user_sgpr_dispatch_id 0
		.amdhsa_user_sgpr_private_segment_size 0
		.amdhsa_wavefront_size32 1
		.amdhsa_uses_dynamic_stack 0
		.amdhsa_enable_private_segment 1
		.amdhsa_system_sgpr_workgroup_id_x 1
		.amdhsa_system_sgpr_workgroup_id_y 0
		.amdhsa_system_sgpr_workgroup_id_z 0
		.amdhsa_system_sgpr_workgroup_info 0
		.amdhsa_system_vgpr_workitem_id 0
		.amdhsa_next_free_vgpr 256
		.amdhsa_next_free_sgpr 46
		.amdhsa_reserve_vcc 1
		.amdhsa_float_round_mode_32 0
		.amdhsa_float_round_mode_16_64 0
		.amdhsa_float_denorm_mode_32 3
		.amdhsa_float_denorm_mode_16_64 3
		.amdhsa_fp16_overflow 0
		.amdhsa_workgroup_processor_mode 1
		.amdhsa_memory_ordered 1
		.amdhsa_forward_progress 0
		.amdhsa_round_robin_scheduling 0
		.amdhsa_exception_fp_ieee_invalid_op 0
		.amdhsa_exception_fp_denorm_src 0
		.amdhsa_exception_fp_ieee_div_zero 0
		.amdhsa_exception_fp_ieee_overflow 0
		.amdhsa_exception_fp_ieee_underflow 0
		.amdhsa_exception_fp_ieee_inexact 0
		.amdhsa_exception_int_div_zero 0
	.end_amdhsa_kernel
	.text
.Lfunc_end0:
	.size	bluestein_single_fwd_len832_dim1_dp_op_CI_CI, .Lfunc_end0-bluestein_single_fwd_len832_dim1_dp_op_CI_CI
                                        ; -- End function
	.section	.AMDGPU.csdata,"",@progbits
; Kernel info:
; codeLenInByte = 17256
; NumSgprs: 48
; NumVgprs: 256
; ScratchSize: 52
; MemoryBound: 0
; FloatMode: 240
; IeeeMode: 1
; LDSByteSize: 13312 bytes/workgroup (compile time only)
; SGPRBlocks: 5
; VGPRBlocks: 31
; NumSGPRsForWavesPerEU: 48
; NumVGPRsForWavesPerEU: 256
; Occupancy: 5
; WaveLimiterHint : 1
; COMPUTE_PGM_RSRC2:SCRATCH_EN: 1
; COMPUTE_PGM_RSRC2:USER_SGPR: 2
; COMPUTE_PGM_RSRC2:TRAP_HANDLER: 0
; COMPUTE_PGM_RSRC2:TGID_X_EN: 1
; COMPUTE_PGM_RSRC2:TGID_Y_EN: 0
; COMPUTE_PGM_RSRC2:TGID_Z_EN: 0
; COMPUTE_PGM_RSRC2:TIDIG_COMP_CNT: 0
	.text
	.p2alignl 7, 3214868480
	.fill 96, 4, 3214868480
	.type	__hip_cuid_e937cca51c7468f1,@object ; @__hip_cuid_e937cca51c7468f1
	.section	.bss,"aw",@nobits
	.globl	__hip_cuid_e937cca51c7468f1
__hip_cuid_e937cca51c7468f1:
	.byte	0                               ; 0x0
	.size	__hip_cuid_e937cca51c7468f1, 1

	.ident	"AMD clang version 19.0.0git (https://github.com/RadeonOpenCompute/llvm-project roc-6.4.0 25133 c7fe45cf4b819c5991fe208aaa96edf142730f1d)"
	.section	".note.GNU-stack","",@progbits
	.addrsig
	.addrsig_sym __hip_cuid_e937cca51c7468f1
	.amdgpu_metadata
---
amdhsa.kernels:
  - .args:
      - .actual_access:  read_only
        .address_space:  global
        .offset:         0
        .size:           8
        .value_kind:     global_buffer
      - .actual_access:  read_only
        .address_space:  global
        .offset:         8
        .size:           8
        .value_kind:     global_buffer
      - .actual_access:  read_only
        .address_space:  global
        .offset:         16
        .size:           8
        .value_kind:     global_buffer
      - .actual_access:  read_only
        .address_space:  global
        .offset:         24
        .size:           8
        .value_kind:     global_buffer
      - .actual_access:  read_only
        .address_space:  global
        .offset:         32
        .size:           8
        .value_kind:     global_buffer
      - .offset:         40
        .size:           8
        .value_kind:     by_value
      - .address_space:  global
        .offset:         48
        .size:           8
        .value_kind:     global_buffer
      - .address_space:  global
        .offset:         56
        .size:           8
        .value_kind:     global_buffer
      - .address_space:  global
        .offset:         64
        .size:           8
        .value_kind:     global_buffer
      - .address_space:  global
        .offset:         72
        .size:           8
        .value_kind:     global_buffer
      - .offset:         80
        .size:           4
        .value_kind:     by_value
      - .address_space:  global
        .offset:         88
        .size:           8
        .value_kind:     global_buffer
      - .address_space:  global
        .offset:         96
        .size:           8
        .value_kind:     global_buffer
    .group_segment_fixed_size: 13312
    .kernarg_segment_align: 8
    .kernarg_segment_size: 104
    .language:       OpenCL C
    .language_version:
      - 2
      - 0
    .max_flat_workgroup_size: 104
    .name:           bluestein_single_fwd_len832_dim1_dp_op_CI_CI
    .private_segment_fixed_size: 52
    .sgpr_count:     48
    .sgpr_spill_count: 0
    .symbol:         bluestein_single_fwd_len832_dim1_dp_op_CI_CI.kd
    .uniform_work_group_size: 1
    .uses_dynamic_stack: false
    .vgpr_count:     256
    .vgpr_spill_count: 12
    .wavefront_size: 32
    .workgroup_processor_mode: 1
amdhsa.target:   amdgcn-amd-amdhsa--gfx1201
amdhsa.version:
  - 1
  - 2
...

	.end_amdgpu_metadata
